;; amdgpu-corpus repo=ROCm/rocFFT kind=compiled arch=gfx1030 opt=O3
	.text
	.amdgcn_target "amdgcn-amd-amdhsa--gfx1030"
	.amdhsa_code_object_version 6
	.protected	fft_rtc_fwd_len918_factors_17_9_2_3_wgs_102_tpt_102_halfLds_dp_op_CI_CI_unitstride_sbrr_dirReg ; -- Begin function fft_rtc_fwd_len918_factors_17_9_2_3_wgs_102_tpt_102_halfLds_dp_op_CI_CI_unitstride_sbrr_dirReg
	.globl	fft_rtc_fwd_len918_factors_17_9_2_3_wgs_102_tpt_102_halfLds_dp_op_CI_CI_unitstride_sbrr_dirReg
	.p2align	8
	.type	fft_rtc_fwd_len918_factors_17_9_2_3_wgs_102_tpt_102_halfLds_dp_op_CI_CI_unitstride_sbrr_dirReg,@function
fft_rtc_fwd_len918_factors_17_9_2_3_wgs_102_tpt_102_halfLds_dp_op_CI_CI_unitstride_sbrr_dirReg: ; @fft_rtc_fwd_len918_factors_17_9_2_3_wgs_102_tpt_102_halfLds_dp_op_CI_CI_unitstride_sbrr_dirReg
; %bb.0:
	s_clause 0x2
	s_load_dwordx4 s[12:15], s[4:5], 0x0
	s_load_dwordx4 s[8:11], s[4:5], 0x58
	;; [unrolled: 1-line block ×3, first 2 shown]
	v_mul_u32_u24_e32 v2, 0x283, v0
	v_mov_b32_e32 v1, 0
	v_mov_b32_e32 v4, 0
	;; [unrolled: 1-line block ×3, first 2 shown]
	v_add_nc_u32_sdwa v6, s6, v2 dst_sel:DWORD dst_unused:UNUSED_PAD src0_sel:DWORD src1_sel:WORD_1
	v_mov_b32_e32 v7, v1
	s_waitcnt lgkmcnt(0)
	v_cmp_lt_u64_e64 s0, s[14:15], 2
	s_and_b32 vcc_lo, exec_lo, s0
	s_cbranch_vccnz .LBB0_8
; %bb.1:
	s_load_dwordx2 s[0:1], s[4:5], 0x10
	v_mov_b32_e32 v4, 0
	v_mov_b32_e32 v5, 0
	s_add_u32 s2, s18, 8
	s_addc_u32 s3, s19, 0
	s_add_u32 s6, s16, 8
	s_addc_u32 s7, s17, 0
	v_mov_b32_e32 v85, v5
	v_mov_b32_e32 v84, v4
	s_mov_b64 s[22:23], 1
	s_waitcnt lgkmcnt(0)
	s_add_u32 s20, s0, 8
	s_addc_u32 s21, s1, 0
.LBB0_2:                                ; =>This Inner Loop Header: Depth=1
	s_load_dwordx2 s[24:25], s[20:21], 0x0
                                        ; implicit-def: $vgpr86_vgpr87
	s_mov_b32 s0, exec_lo
	s_waitcnt lgkmcnt(0)
	v_or_b32_e32 v2, s25, v7
	v_cmpx_ne_u64_e32 0, v[1:2]
	s_xor_b32 s1, exec_lo, s0
	s_cbranch_execz .LBB0_4
; %bb.3:                                ;   in Loop: Header=BB0_2 Depth=1
	v_cvt_f32_u32_e32 v2, s24
	v_cvt_f32_u32_e32 v3, s25
	s_sub_u32 s0, 0, s24
	s_subb_u32 s26, 0, s25
	v_fmac_f32_e32 v2, 0x4f800000, v3
	v_rcp_f32_e32 v2, v2
	v_mul_f32_e32 v2, 0x5f7ffffc, v2
	v_mul_f32_e32 v3, 0x2f800000, v2
	v_trunc_f32_e32 v3, v3
	v_fmac_f32_e32 v2, 0xcf800000, v3
	v_cvt_u32_f32_e32 v3, v3
	v_cvt_u32_f32_e32 v2, v2
	v_mul_lo_u32 v8, s0, v3
	v_mul_hi_u32 v9, s0, v2
	v_mul_lo_u32 v10, s26, v2
	v_add_nc_u32_e32 v8, v9, v8
	v_mul_lo_u32 v9, s0, v2
	v_add_nc_u32_e32 v8, v8, v10
	v_mul_hi_u32 v10, v2, v9
	v_mul_lo_u32 v11, v2, v8
	v_mul_hi_u32 v12, v2, v8
	v_mul_hi_u32 v13, v3, v9
	v_mul_lo_u32 v9, v3, v9
	v_mul_hi_u32 v14, v3, v8
	v_mul_lo_u32 v8, v3, v8
	v_add_co_u32 v10, vcc_lo, v10, v11
	v_add_co_ci_u32_e32 v11, vcc_lo, 0, v12, vcc_lo
	v_add_co_u32 v9, vcc_lo, v10, v9
	v_add_co_ci_u32_e32 v9, vcc_lo, v11, v13, vcc_lo
	v_add_co_ci_u32_e32 v10, vcc_lo, 0, v14, vcc_lo
	v_add_co_u32 v8, vcc_lo, v9, v8
	v_add_co_ci_u32_e32 v9, vcc_lo, 0, v10, vcc_lo
	v_add_co_u32 v2, vcc_lo, v2, v8
	v_add_co_ci_u32_e32 v3, vcc_lo, v3, v9, vcc_lo
	v_mul_hi_u32 v8, s0, v2
	v_mul_lo_u32 v10, s26, v2
	v_mul_lo_u32 v9, s0, v3
	v_add_nc_u32_e32 v8, v8, v9
	v_mul_lo_u32 v9, s0, v2
	v_add_nc_u32_e32 v8, v8, v10
	v_mul_hi_u32 v10, v2, v9
	v_mul_lo_u32 v11, v2, v8
	v_mul_hi_u32 v12, v2, v8
	v_mul_hi_u32 v13, v3, v9
	v_mul_lo_u32 v9, v3, v9
	v_mul_hi_u32 v14, v3, v8
	v_mul_lo_u32 v8, v3, v8
	v_add_co_u32 v10, vcc_lo, v10, v11
	v_add_co_ci_u32_e32 v11, vcc_lo, 0, v12, vcc_lo
	v_add_co_u32 v9, vcc_lo, v10, v9
	v_add_co_ci_u32_e32 v9, vcc_lo, v11, v13, vcc_lo
	v_add_co_ci_u32_e32 v10, vcc_lo, 0, v14, vcc_lo
	v_add_co_u32 v8, vcc_lo, v9, v8
	v_add_co_ci_u32_e32 v9, vcc_lo, 0, v10, vcc_lo
	v_add_co_u32 v8, vcc_lo, v2, v8
	v_add_co_ci_u32_e32 v10, vcc_lo, v3, v9, vcc_lo
	v_mul_hi_u32 v12, v6, v8
	v_mad_u64_u32 v[8:9], null, v7, v8, 0
	v_mad_u64_u32 v[2:3], null, v6, v10, 0
	;; [unrolled: 1-line block ×3, first 2 shown]
	v_add_co_u32 v2, vcc_lo, v12, v2
	v_add_co_ci_u32_e32 v3, vcc_lo, 0, v3, vcc_lo
	v_add_co_u32 v2, vcc_lo, v2, v8
	v_add_co_ci_u32_e32 v2, vcc_lo, v3, v9, vcc_lo
	v_add_co_ci_u32_e32 v3, vcc_lo, 0, v11, vcc_lo
	v_add_co_u32 v8, vcc_lo, v2, v10
	v_add_co_ci_u32_e32 v9, vcc_lo, 0, v3, vcc_lo
	v_mul_lo_u32 v10, s25, v8
	v_mad_u64_u32 v[2:3], null, s24, v8, 0
	v_mul_lo_u32 v11, s24, v9
	v_sub_co_u32 v2, vcc_lo, v6, v2
	v_add3_u32 v3, v3, v11, v10
	v_sub_nc_u32_e32 v10, v7, v3
	v_subrev_co_ci_u32_e64 v10, s0, s25, v10, vcc_lo
	v_add_co_u32 v11, s0, v8, 2
	v_add_co_ci_u32_e64 v12, s0, 0, v9, s0
	v_sub_co_u32 v13, s0, v2, s24
	v_sub_co_ci_u32_e32 v3, vcc_lo, v7, v3, vcc_lo
	v_subrev_co_ci_u32_e64 v10, s0, 0, v10, s0
	v_cmp_le_u32_e32 vcc_lo, s24, v13
	v_cmp_eq_u32_e64 s0, s25, v3
	v_cndmask_b32_e64 v13, 0, -1, vcc_lo
	v_cmp_le_u32_e32 vcc_lo, s25, v10
	v_cndmask_b32_e64 v14, 0, -1, vcc_lo
	v_cmp_le_u32_e32 vcc_lo, s24, v2
	;; [unrolled: 2-line block ×3, first 2 shown]
	v_cndmask_b32_e64 v15, 0, -1, vcc_lo
	v_cmp_eq_u32_e32 vcc_lo, s25, v10
	v_cndmask_b32_e64 v2, v15, v2, s0
	v_cndmask_b32_e32 v10, v14, v13, vcc_lo
	v_add_co_u32 v13, vcc_lo, v8, 1
	v_add_co_ci_u32_e32 v14, vcc_lo, 0, v9, vcc_lo
	v_cmp_ne_u32_e32 vcc_lo, 0, v10
	v_cndmask_b32_e32 v3, v14, v12, vcc_lo
	v_cndmask_b32_e32 v10, v13, v11, vcc_lo
	v_cmp_ne_u32_e32 vcc_lo, 0, v2
	v_cndmask_b32_e32 v87, v9, v3, vcc_lo
	v_cndmask_b32_e32 v86, v8, v10, vcc_lo
.LBB0_4:                                ;   in Loop: Header=BB0_2 Depth=1
	s_andn2_saveexec_b32 s0, s1
	s_cbranch_execz .LBB0_6
; %bb.5:                                ;   in Loop: Header=BB0_2 Depth=1
	v_cvt_f32_u32_e32 v2, s24
	s_sub_i32 s1, 0, s24
	v_mov_b32_e32 v87, v1
	v_rcp_iflag_f32_e32 v2, v2
	v_mul_f32_e32 v2, 0x4f7ffffe, v2
	v_cvt_u32_f32_e32 v2, v2
	v_mul_lo_u32 v3, s1, v2
	v_mul_hi_u32 v3, v2, v3
	v_add_nc_u32_e32 v2, v2, v3
	v_mul_hi_u32 v2, v6, v2
	v_mul_lo_u32 v3, v2, s24
	v_add_nc_u32_e32 v8, 1, v2
	v_sub_nc_u32_e32 v3, v6, v3
	v_subrev_nc_u32_e32 v9, s24, v3
	v_cmp_le_u32_e32 vcc_lo, s24, v3
	v_cndmask_b32_e32 v3, v3, v9, vcc_lo
	v_cndmask_b32_e32 v2, v2, v8, vcc_lo
	v_cmp_le_u32_e32 vcc_lo, s24, v3
	v_add_nc_u32_e32 v8, 1, v2
	v_cndmask_b32_e32 v86, v2, v8, vcc_lo
.LBB0_6:                                ;   in Loop: Header=BB0_2 Depth=1
	s_or_b32 exec_lo, exec_lo, s0
	v_mul_lo_u32 v8, v87, s24
	v_mul_lo_u32 v9, v86, s25
	s_load_dwordx2 s[0:1], s[6:7], 0x0
	v_mad_u64_u32 v[2:3], null, v86, s24, 0
	s_load_dwordx2 s[24:25], s[2:3], 0x0
	s_add_u32 s22, s22, 1
	s_addc_u32 s23, s23, 0
	s_add_u32 s2, s2, 8
	s_addc_u32 s3, s3, 0
	s_add_u32 s6, s6, 8
	v_add3_u32 v3, v3, v9, v8
	v_sub_co_u32 v2, vcc_lo, v6, v2
	s_addc_u32 s7, s7, 0
	s_add_u32 s20, s20, 8
	v_sub_co_ci_u32_e32 v3, vcc_lo, v7, v3, vcc_lo
	s_addc_u32 s21, s21, 0
	s_waitcnt lgkmcnt(0)
	v_mul_lo_u32 v6, s0, v3
	v_mul_lo_u32 v7, s1, v2
	v_mad_u64_u32 v[4:5], null, s0, v2, v[4:5]
	v_mul_lo_u32 v3, s24, v3
	v_mul_lo_u32 v8, s25, v2
	v_mad_u64_u32 v[84:85], null, s24, v2, v[84:85]
	v_cmp_ge_u64_e64 s0, s[22:23], s[14:15]
	v_add3_u32 v5, v7, v5, v6
	v_add3_u32 v85, v8, v85, v3
	s_and_b32 vcc_lo, exec_lo, s0
	s_cbranch_vccnz .LBB0_9
; %bb.7:                                ;   in Loop: Header=BB0_2 Depth=1
	v_mov_b32_e32 v6, v86
	v_mov_b32_e32 v7, v87
	s_branch .LBB0_2
.LBB0_8:
	v_mov_b32_e32 v85, v5
	v_mov_b32_e32 v87, v7
	;; [unrolled: 1-line block ×4, first 2 shown]
.LBB0_9:
	s_load_dwordx2 s[0:1], s[4:5], 0x28
	v_mul_hi_u32 v1, 0x2828283, v0
	s_lshl_b64 s[4:5], s[14:15], 3
                                        ; implicit-def: $vgpr2_vgpr3
                                        ; implicit-def: $vgpr10_vgpr11
                                        ; implicit-def: $vgpr14_vgpr15
                                        ; implicit-def: $vgpr18_vgpr19
                                        ; implicit-def: $vgpr22_vgpr23
                                        ; implicit-def: $vgpr26_vgpr27
                                        ; implicit-def: $vgpr30_vgpr31
                                        ; implicit-def: $vgpr34_vgpr35
                                        ; implicit-def: $vgpr38_vgpr39
                                        ; implicit-def: $vgpr42_vgpr43
                                        ; implicit-def: $vgpr46_vgpr47
                                        ; implicit-def: $vgpr50_vgpr51
                                        ; implicit-def: $vgpr54_vgpr55
                                        ; implicit-def: $vgpr58_vgpr59
                                        ; implicit-def: $vgpr66_vgpr67
                                        ; implicit-def: $vgpr62_vgpr63
                                        ; implicit-def: $vgpr6_vgpr7
	s_add_u32 s2, s18, s4
	s_addc_u32 s3, s19, s5
	v_mul_u32_u24_e32 v1, 0x66, v1
	v_sub_nc_u32_e32 v88, v0, v1
	s_waitcnt lgkmcnt(0)
	v_cmp_gt_u64_e32 vcc_lo, s[0:1], v[86:87]
	v_cmp_gt_u32_e64 s0, 54, v88
	s_and_b32 s1, vcc_lo, s0
	s_and_saveexec_b32 s6, s1
	s_cbranch_execz .LBB0_11
; %bb.10:
	s_add_u32 s4, s16, s4
	s_addc_u32 s5, s17, s5
	v_mov_b32_e32 v89, 0
	s_load_dwordx2 s[4:5], s[4:5], 0x0
	s_waitcnt lgkmcnt(0)
	v_mul_lo_u32 v2, s5, v86
	v_mul_lo_u32 v3, s4, v87
	v_mad_u64_u32 v[0:1], null, s4, v86, 0
	v_add3_u32 v1, v1, v3, v2
	v_lshlrev_b64 v[2:3], 4, v[4:5]
	v_lshlrev_b64 v[0:1], 4, v[0:1]
	v_add_co_u32 v4, s1, s8, v0
	v_add_co_ci_u32_e64 v5, s1, s9, v1, s1
	v_lshlrev_b64 v[0:1], 4, v[88:89]
	v_add_co_u32 v2, s1, v4, v2
	v_add_co_ci_u32_e64 v3, s1, v5, v3, s1
	v_add_co_u32 v0, s1, v2, v0
	v_add_co_ci_u32_e64 v1, s1, v3, v1, s1
	s_clause 0x1
	global_load_dwordx4 v[4:7], v[0:1], off
	global_load_dwordx4 v[60:63], v[0:1], off offset:864
	v_add_co_u32 v2, s1, 0x800, v0
	v_add_co_ci_u32_e64 v3, s1, 0, v1, s1
	v_add_co_u32 v8, s1, 0x1000, v0
	v_add_co_ci_u32_e64 v9, s1, 0, v1, s1
	v_add_co_u32 v10, s1, 0x1800, v0
	v_add_co_ci_u32_e64 v11, s1, 0, v1, s1
	v_add_co_u32 v12, s1, 0x2000, v0
	v_add_co_ci_u32_e64 v13, s1, 0, v1, s1
	v_add_co_u32 v14, s1, 0x2800, v0
	v_add_co_ci_u32_e64 v15, s1, 0, v1, s1
	v_add_co_u32 v68, s1, 0x3000, v0
	v_add_co_ci_u32_e64 v69, s1, 0, v1, s1
	s_clause 0xe
	global_load_dwordx4 v[64:67], v[0:1], off offset:1728
	global_load_dwordx4 v[56:59], v[2:3], off offset:544
	;; [unrolled: 1-line block ×15, first 2 shown]
.LBB0_11:
	s_or_b32 exec_lo, exec_lo, s6
	s_waitcnt vmcnt(0)
	v_add_f64 v[68:69], v[0:1], v[60:61]
	s_mov_b32 s8, 0x7faef3
	s_mov_b32 s9, 0xbfef7484
	v_add_f64 v[92:93], v[62:63], -v[2:3]
	v_add_f64 v[74:75], v[8:9], v[64:65]
	s_mov_b32 s24, 0xacd6c6b4
	s_mov_b32 s14, 0x370991
	s_mov_b32 s25, 0xbfc7851a
	s_mov_b32 s15, 0x3fedd6d0
	v_add_f64 v[106:107], v[66:67], -v[10:11]
	v_add_f64 v[70:71], v[12:13], v[56:57]
	s_mov_b32 s26, 0x5d8e7cdc
	s_mov_b32 s16, 0x910ea3b9
	;; [unrolled: 6-line block ×3, first 2 shown]
	s_mov_b32 s29, 0xbfe0d888
	s_mov_b32 s19, 0x3fe7a5f6
	v_add_f64 v[98:99], v[54:55], -v[18:19]
	v_mul_f64 v[112:113], v[68:69], s[8:9]
	s_mov_b32 s30, 0x2a9d6da3
	s_mov_b32 s20, 0x6ed5f1bb
	s_mov_b32 s31, 0x3fe58eea
	v_mul_f64 v[118:119], v[74:75], s[14:15]
	s_mov_b32 s21, 0xbfe348c8
	v_add_f64 v[100:101], v[50:51], -v[22:23]
	s_mov_b32 s34, 0x6c9a05f6
	s_mov_b32 s22, 0x2b2883cd
	s_mov_b32 s35, 0xbfe9895b
	v_mul_f64 v[116:117], v[70:71], s[16:17]
	s_mov_b32 s23, 0x3fdc86fa
	v_add_f64 v[102:103], v[46:47], -v[26:27]
	;; [unrolled: 6-line block ×3, first 2 shown]
	s_mov_b32 s38, 0x923c349f
	s_mov_b32 s6, 0x3259b75e
	;; [unrolled: 1-line block ×3, first 2 shown]
	v_fma_f64 v[76:77], v[92:93], s[24:25], v[112:113]
	s_mov_b32 s7, 0x3fb79ee6
	s_mov_b32 s40, 0xeb564b22
	;; [unrolled: 1-line block ×3, first 2 shown]
	v_fma_f64 v[78:79], v[106:107], s[26:27], v[118:119]
	v_fma_f64 v[82:83], v[96:97], s[28:29], v[116:117]
	v_fma_f64 v[89:90], v[98:99], s[30:31], v[120:121]
	v_add_f64 v[80:81], v[4:5], v[76:77]
	v_add_f64 v[76:77], v[20:21], v[48:49]
	;; [unrolled: 1-line block ×4, first 2 shown]
	v_mul_f64 v[110:111], v[76:77], s[20:21]
	v_add_f64 v[80:81], v[82:83], v[80:81]
	v_add_f64 v[82:83], v[28:29], v[40:41]
	v_mul_f64 v[108:109], v[78:79], s[22:23]
	v_fma_f64 v[94:95], v[100:101], s[34:35], v[110:111]
	v_add_f64 v[80:81], v[89:90], v[80:81]
	v_mul_f64 v[114:115], v[82:83], s[4:5]
	v_fma_f64 v[89:90], v[102:103], s[36:37], v[108:109]
	v_add_f64 v[122:123], v[94:95], v[80:81]
	v_add_f64 v[80:81], v[32:33], v[36:37]
	v_add_f64 v[94:95], v[38:39], -v[34:35]
	v_fma_f64 v[124:125], v[104:105], s[38:39], v[114:115]
	v_add_f64 v[89:90], v[89:90], v[122:123]
	v_mul_f64 v[122:123], v[80:81], s[6:7]
	v_add_f64 v[89:90], v[124:125], v[89:90]
	v_fma_f64 v[124:125], v[94:95], s[40:41], v[122:123]
	v_add_f64 v[90:91], v[124:125], v[89:90]
	s_and_saveexec_b32 s1, s0
	s_cbranch_execz .LBB0_13
; %bb.12:
	v_mul_f64 v[124:125], v[92:93], s[24:25]
	v_mul_f64 v[126:127], v[92:93], s[28:29]
	;; [unrolled: 1-line block ×4, first 2 shown]
	v_add_f64 v[140:141], v[60:61], v[4:5]
	s_mov_b32 s45, 0xbfefdd0d
	s_mov_b32 s44, s40
	;; [unrolled: 1-line block ×3, first 2 shown]
	v_mul_f64 v[144:145], v[92:93], s[44:45]
	s_mov_b32 s42, s38
	s_mov_b32 s47, 0x3fe0d888
	;; [unrolled: 1-line block ×3, first 2 shown]
	v_mul_f64 v[134:135], v[106:107], s[26:27]
	v_mul_f64 v[138:139], v[106:107], s[36:37]
	;; [unrolled: 1-line block ×6, first 2 shown]
	s_mov_b32 s51, 0xbfd71e95
	s_mov_b32 s50, s26
	v_mul_f64 v[150:151], v[96:97], s[30:31]
	v_mul_f64 v[162:163], v[96:97], s[44:45]
	v_add_f64 v[112:113], v[112:113], -v[124:125]
	v_fma_f64 v[124:125], v[68:69], s[16:17], v[126:127]
	v_fma_f64 v[126:127], v[68:69], s[16:17], -v[126:127]
	v_fma_f64 v[148:149], v[68:69], s[20:21], v[132:133]
	v_fma_f64 v[132:133], v[68:69], s[20:21], -v[132:133]
	v_fma_f64 v[154:155], v[68:69], s[4:5], v[136:137]
	v_add_f64 v[140:141], v[64:65], v[140:141]
	v_fma_f64 v[136:137], v[68:69], s[4:5], -v[136:137]
	v_fma_f64 v[160:161], v[68:69], s[6:7], v[144:145]
	v_fma_f64 v[144:145], v[68:69], s[6:7], -v[144:145]
	v_mul_f64 v[164:165], v[96:97], s[50:51]
	v_mul_f64 v[128:129], v[98:99], s[30:31]
	v_add_f64 v[118:119], v[118:119], -v[134:135]
	v_fma_f64 v[134:135], v[74:75], s[22:23], v[138:139]
	v_fma_f64 v[138:139], v[74:75], s[22:23], -v[138:139]
	v_fma_f64 v[158:159], v[74:75], s[4:5], v[142:143]
	v_fma_f64 v[142:143], v[74:75], s[4:5], -v[142:143]
	v_fma_f64 v[166:167], v[74:75], s[16:17], v[152:153]
	v_mul_f64 v[168:169], v[96:97], s[42:43]
	v_add_f64 v[116:117], v[116:117], -v[130:131]
	v_fma_f64 v[130:131], v[74:75], s[8:9], v[146:147]
	v_fma_f64 v[152:153], v[74:75], s[16:17], -v[152:153]
	v_add_f64 v[112:113], v[4:5], v[112:113]
	v_add_f64 v[124:125], v[4:5], v[124:125]
	v_add_f64 v[126:127], v[4:5], v[126:127]
	v_add_f64 v[148:149], v[4:5], v[148:149]
	v_add_f64 v[132:133], v[4:5], v[132:133]
	v_add_f64 v[154:155], v[4:5], v[154:155]
	v_add_f64 v[140:141], v[56:57], v[140:141]
	v_add_f64 v[136:137], v[4:5], v[136:137]
	v_add_f64 v[160:161], v[4:5], v[160:161]
	s_mov_b32 s49, 0x3fe9895b
	s_mov_b32 s48, s34
	;; [unrolled: 1-line block ×4, first 2 shown]
	v_mul_f64 v[156:157], v[98:99], s[28:29]
	v_mul_f64 v[170:171], v[98:99], s[48:49]
	;; [unrolled: 1-line block ×3, first 2 shown]
	v_fma_f64 v[146:147], v[74:75], s[8:9], -v[146:147]
	v_add_f64 v[144:145], v[4:5], v[144:145]
	v_add_f64 v[120:121], v[120:121], -v[128:129]
	v_fma_f64 v[128:129], v[70:71], s[18:19], -v[150:151]
	s_mov_b32 s55, 0xbfe58eea
	s_mov_b32 s54, s30
	v_add_f64 v[112:113], v[118:119], v[112:113]
	v_add_f64 v[118:119], v[134:135], v[124:125]
	v_add_f64 v[124:125], v[138:139], v[126:127]
	v_add_f64 v[126:127], v[158:159], v[148:149]
	v_add_f64 v[132:133], v[142:143], v[132:133]
	v_fma_f64 v[134:135], v[70:71], s[6:7], v[162:163]
	v_fma_f64 v[138:139], v[70:71], s[6:7], -v[162:163]
	v_fma_f64 v[142:143], v[70:71], s[14:15], v[164:165]
	v_fma_f64 v[148:149], v[70:71], s[14:15], -v[164:165]
	v_fma_f64 v[158:159], v[70:71], s[18:19], v[150:151]
	v_add_f64 v[154:155], v[166:167], v[154:155]
	v_add_f64 v[140:141], v[52:53], v[140:141]
	v_mul_f64 v[164:165], v[98:99], s[26:27]
	v_fma_f64 v[166:167], v[70:71], s[4:5], v[168:169]
	v_add_f64 v[136:137], v[152:153], v[136:137]
	v_add_f64 v[130:131], v[130:131], v[160:161]
	v_fma_f64 v[150:151], v[72:73], s[16:17], v[156:157]
	v_fma_f64 v[156:157], v[72:73], s[16:17], -v[156:157]
	v_fma_f64 v[152:153], v[70:71], s[4:5], -v[168:169]
	;; [unrolled: 1-line block ×3, first 2 shown]
	v_add_f64 v[144:145], v[146:147], v[144:145]
	v_fma_f64 v[146:147], v[72:73], s[22:23], v[172:173]
	v_add_f64 v[112:113], v[116:117], v[112:113]
	v_mul_f64 v[162:163], v[100:101], s[34:35]
	v_fma_f64 v[160:161], v[72:73], s[20:21], v[170:171]
	v_fma_f64 v[170:171], v[72:73], s[22:23], -v[172:173]
	v_mad_u32_u24 v89, 0x88, v88, 0
	v_add_f64 v[116:117], v[134:135], v[118:119]
	v_add_f64 v[118:119], v[138:139], v[124:125]
	;; [unrolled: 1-line block ×4, first 2 shown]
	v_mul_f64 v[134:135], v[100:101], s[50:51]
	v_add_f64 v[132:133], v[158:159], v[154:155]
	v_add_f64 v[140:141], v[48:49], v[140:141]
	v_mul_f64 v[142:143], v[100:101], s[40:41]
	v_mul_f64 v[154:155], v[100:101], s[24:25]
	v_add_f64 v[128:129], v[128:129], v[136:137]
	v_fma_f64 v[136:137], v[72:73], s[14:15], v[164:165]
	v_add_f64 v[130:131], v[166:167], v[130:131]
	v_mul_f64 v[138:139], v[94:95], s[40:41]
	v_mul_f64 v[148:149], v[104:105], s[38:39]
	;; [unrolled: 1-line block ×4, first 2 shown]
	v_fma_f64 v[164:165], v[72:73], s[14:15], -v[164:165]
	v_add_f64 v[112:113], v[120:121], v[112:113]
	v_add_f64 v[144:145], v[152:153], v[144:145]
	v_add_f64 v[110:111], v[110:111], -v[162:163]
	v_mul_f64 v[162:163], v[102:103], s[28:29]
	v_add_f64 v[116:117], v[160:161], v[116:117]
	v_add_f64 v[118:119], v[168:169], v[118:119]
	;; [unrolled: 1-line block ×4, first 2 shown]
	v_mul_f64 v[156:157], v[92:93], s[54:55]
	v_add_f64 v[126:127], v[146:147], v[132:133]
	v_fma_f64 v[146:147], v[76:77], s[14:15], v[134:135]
	v_fma_f64 v[134:135], v[76:77], s[14:15], -v[134:135]
	v_add_f64 v[140:141], v[44:45], v[140:141]
	v_mul_f64 v[132:133], v[92:93], s[52:53]
	v_fma_f64 v[150:151], v[76:77], s[6:7], v[142:143]
	v_fma_f64 v[142:143], v[76:77], s[6:7], -v[142:143]
	v_add_f64 v[128:129], v[170:171], v[128:129]
	v_add_f64 v[130:131], v[136:137], v[130:131]
	v_fma_f64 v[136:137], v[76:77], s[8:9], -v[154:155]
	v_mul_f64 v[92:93], v[92:93], s[50:51]
	v_fma_f64 v[152:153], v[76:77], s[8:9], v[154:155]
	v_fma_f64 v[154:155], v[76:77], s[22:23], v[166:167]
	v_add_f64 v[144:145], v[164:165], v[144:145]
	v_fma_f64 v[160:161], v[76:77], s[22:23], -v[166:167]
	v_add_f64 v[108:109], v[108:109], -v[158:159]
	v_add_f64 v[110:111], v[110:111], v[112:113]
	v_mul_f64 v[112:113], v[102:103], s[24:25]
	v_add_f64 v[122:123], v[122:123], -v[138:139]
	v_add_f64 v[114:115], v[114:115], -v[148:149]
	v_mul_f64 v[148:149], v[106:107], s[34:35]
	v_add_f64 v[116:117], v[146:147], v[116:117]
	v_add_f64 v[118:119], v[134:135], v[118:119]
	;; [unrolled: 1-line block ×3, first 2 shown]
	v_fma_f64 v[138:139], v[68:69], s[22:23], v[132:133]
	v_fma_f64 v[132:133], v[68:69], s[22:23], -v[132:133]
	v_add_f64 v[124:125], v[142:143], v[124:125]
	v_fma_f64 v[142:143], v[68:69], s[18:19], v[156:157]
	v_mul_f64 v[146:147], v[106:107], s[44:45]
	v_add_f64 v[128:129], v[136:137], v[128:129]
	v_fma_f64 v[136:137], v[68:69], s[18:19], -v[156:157]
	v_add_f64 v[120:121], v[150:151], v[120:121]
	v_mul_f64 v[140:141], v[102:103], s[54:55]
	v_fma_f64 v[150:151], v[68:69], s[14:15], v[92:93]
	v_mul_f64 v[106:107], v[106:107], s[54:55]
	v_fma_f64 v[68:69], v[68:69], s[14:15], -v[92:93]
	s_mov_b32 s55, 0x3fc7851a
	s_mov_b32 s54, s24
	v_add_f64 v[126:127], v[152:153], v[126:127]
	v_add_f64 v[130:131], v[154:155], v[130:131]
	;; [unrolled: 1-line block ×4, first 2 shown]
	v_fma_f64 v[110:111], v[78:79], s[8:9], v[112:113]
	v_fma_f64 v[112:113], v[78:79], s[8:9], -v[112:113]
	v_mul_f64 v[152:153], v[102:103], s[40:41]
	v_add_f64 v[92:93], v[36:37], v[134:135]
	v_add_f64 v[138:139], v[4:5], v[138:139]
	v_fma_f64 v[154:155], v[74:75], s[20:21], v[148:149]
	v_mul_f64 v[134:135], v[96:97], s[54:55]
	v_fma_f64 v[148:149], v[74:75], s[20:21], -v[148:149]
	v_add_f64 v[132:133], v[4:5], v[132:133]
	v_add_f64 v[142:143], v[4:5], v[142:143]
	v_fma_f64 v[158:159], v[74:75], s[6:7], v[146:147]
	v_mul_f64 v[160:161], v[96:97], s[34:35]
	v_fma_f64 v[146:147], v[74:75], s[6:7], -v[146:147]
	v_add_f64 v[136:137], v[4:5], v[136:137]
	v_fma_f64 v[156:157], v[78:79], s[18:19], v[140:141]
	v_add_f64 v[150:151], v[4:5], v[150:151]
	v_fma_f64 v[164:165], v[74:75], s[18:19], v[106:107]
	v_mul_f64 v[96:97], v[96:97], s[52:53]
	v_fma_f64 v[74:75], v[74:75], s[18:19], -v[106:107]
	v_add_f64 v[4:5], v[4:5], v[68:69]
	v_mul_f64 v[106:107], v[98:99], s[42:43]
	v_add_f64 v[108:109], v[114:115], v[108:109]
	v_add_f64 v[110:111], v[110:111], v[116:117]
	v_fma_f64 v[116:117], v[78:79], s[18:19], -v[140:141]
	v_add_f64 v[112:113], v[112:113], v[118:119]
	v_add_f64 v[68:69], v[32:33], v[92:93]
	v_fma_f64 v[118:119], v[78:79], s[6:7], v[152:153]
	v_fma_f64 v[140:141], v[78:79], s[6:7], -v[152:153]
	v_add_f64 v[138:139], v[154:155], v[138:139]
	v_fma_f64 v[92:93], v[70:71], s[8:9], v[134:135]
	v_add_f64 v[132:133], v[148:149], v[132:133]
	v_fma_f64 v[134:135], v[70:71], s[8:9], -v[134:135]
	v_add_f64 v[142:143], v[158:159], v[142:143]
	v_fma_f64 v[148:149], v[70:71], s[20:21], v[160:161]
	v_mul_f64 v[152:153], v[98:99], s[24:25]
	v_add_f64 v[136:137], v[146:147], v[136:137]
	v_fma_f64 v[146:147], v[70:71], s[20:21], -v[160:161]
	v_add_f64 v[120:121], v[156:157], v[120:121]
	v_add_f64 v[150:151], v[164:165], v[150:151]
	v_fma_f64 v[156:157], v[70:71], s[22:23], v[96:97]
	v_mul_f64 v[98:99], v[98:99], s[44:45]
	v_fma_f64 v[70:71], v[70:71], s[22:23], -v[96:97]
	v_add_f64 v[4:5], v[74:75], v[4:5]
	v_mul_f64 v[158:159], v[104:105], s[30:31]
	v_mul_f64 v[96:97], v[100:101], s[30:31]
	v_add_f64 v[116:117], v[116:117], v[124:125]
	v_fma_f64 v[124:125], v[78:79], s[16:17], -v[162:163]
	v_add_f64 v[68:69], v[28:29], v[68:69]
	v_add_f64 v[118:119], v[118:119], v[126:127]
	;; [unrolled: 1-line block ×3, first 2 shown]
	v_mul_f64 v[140:141], v[100:101], s[46:47]
	v_add_f64 v[74:75], v[92:93], v[138:139]
	v_fma_f64 v[92:93], v[72:73], s[4:5], v[106:107]
	v_add_f64 v[128:129], v[134:135], v[132:133]
	v_fma_f64 v[106:107], v[72:73], s[4:5], -v[106:107]
	v_mul_f64 v[132:133], v[104:105], s[24:25]
	v_add_f64 v[134:135], v[148:149], v[142:143]
	v_fma_f64 v[138:139], v[72:73], s[8:9], v[152:153]
	v_add_f64 v[136:137], v[146:147], v[136:137]
	v_fma_f64 v[142:143], v[72:73], s[8:9], -v[152:153]
	v_mul_f64 v[100:101], v[100:101], s[38:39]
	v_add_f64 v[146:147], v[156:157], v[150:151]
	v_fma_f64 v[148:149], v[72:73], s[6:7], v[98:99]
	v_fma_f64 v[72:73], v[72:73], s[6:7], -v[98:99]
	v_add_f64 v[4:5], v[70:71], v[4:5]
	v_fma_f64 v[70:71], v[82:83], s[18:19], -v[158:159]
	v_mul_f64 v[98:99], v[102:103], s[50:51]
	v_fma_f64 v[154:155], v[78:79], s[16:17], v[162:163]
	v_mul_f64 v[150:151], v[104:105], s[50:51]
	v_add_f64 v[68:69], v[24:25], v[68:69]
	v_add_f64 v[124:125], v[124:125], v[144:145]
	v_fma_f64 v[144:145], v[82:83], s[18:19], v[158:159]
	v_add_f64 v[74:75], v[92:93], v[74:75]
	v_fma_f64 v[92:93], v[76:77], s[18:19], v[96:97]
	v_add_f64 v[106:107], v[106:107], v[128:129]
	v_fma_f64 v[96:97], v[76:77], s[18:19], -v[96:97]
	v_fma_f64 v[114:115], v[82:83], s[8:9], v[132:133]
	v_add_f64 v[128:129], v[138:139], v[134:135]
	v_fma_f64 v[134:135], v[76:77], s[16:17], v[140:141]
	v_mul_f64 v[138:139], v[102:103], s[42:43]
	v_add_f64 v[136:137], v[142:143], v[136:137]
	v_fma_f64 v[140:141], v[76:77], s[16:17], -v[140:141]
	v_fma_f64 v[132:133], v[82:83], s[8:9], -v[132:133]
	v_add_f64 v[142:143], v[148:149], v[146:147]
	v_fma_f64 v[146:147], v[76:77], s[4:5], v[100:101]
	v_mul_f64 v[102:103], v[102:103], s[34:35]
	v_fma_f64 v[76:77], v[76:77], s[4:5], -v[100:101]
	v_add_f64 v[4:5], v[72:73], v[4:5]
	v_mul_f64 v[72:73], v[104:105], s[48:49]
	v_add_f64 v[68:69], v[20:21], v[68:69]
	v_add_f64 v[70:71], v[70:71], v[112:113]
	v_mul_f64 v[100:101], v[104:105], s[44:45]
	v_add_f64 v[130:131], v[154:155], v[130:131]
	v_fma_f64 v[148:149], v[82:83], s[14:15], -v[150:151]
	v_add_f64 v[110:111], v[144:145], v[110:111]
	v_add_f64 v[74:75], v[92:93], v[74:75]
	v_fma_f64 v[92:93], v[78:79], s[14:15], v[98:99]
	v_add_f64 v[96:97], v[96:97], v[106:107]
	v_fma_f64 v[98:99], v[78:79], s[14:15], -v[98:99]
	v_add_f64 v[106:107], v[114:115], v[120:121]
	v_add_f64 v[112:113], v[134:135], v[128:129]
	v_fma_f64 v[114:115], v[78:79], s[4:5], v[138:139]
	v_mul_f64 v[120:121], v[104:105], s[36:37]
	v_add_f64 v[128:129], v[140:141], v[136:137]
	v_fma_f64 v[134:135], v[78:79], s[4:5], -v[138:139]
	v_add_f64 v[116:117], v[132:133], v[116:117]
	v_add_f64 v[132:133], v[146:147], v[142:143]
	v_fma_f64 v[136:137], v[78:79], s[20:21], v[102:103]
	v_mul_f64 v[104:105], v[104:105], s[28:29]
	v_fma_f64 v[78:79], v[78:79], s[20:21], -v[102:103]
	v_add_f64 v[4:5], v[76:77], v[4:5]
	v_add_f64 v[68:69], v[16:17], v[68:69]
	v_fma_f64 v[76:77], v[82:83], s[20:21], v[72:73]
	v_fma_f64 v[72:73], v[82:83], s[20:21], -v[72:73]
	v_mul_f64 v[102:103], v[94:95], s[38:39]
	v_mul_f64 v[138:139], v[94:95], s[36:37]
	;; [unrolled: 1-line block ×4, first 2 shown]
	v_add_f64 v[74:75], v[92:93], v[74:75]
	v_fma_f64 v[92:93], v[82:83], s[6:7], v[100:101]
	v_add_f64 v[96:97], v[98:99], v[96:97]
	v_fma_f64 v[98:99], v[82:83], s[6:7], -v[100:101]
	v_mul_f64 v[100:101], v[94:95], s[34:35]
	v_add_f64 v[112:113], v[114:115], v[112:113]
	v_fma_f64 v[114:115], v[82:83], s[22:23], v[120:121]
	v_fma_f64 v[120:121], v[82:83], s[22:23], -v[120:121]
	v_add_f64 v[128:129], v[134:135], v[128:129]
	v_mul_f64 v[134:135], v[94:95], s[28:29]
	v_fma_f64 v[144:145], v[82:83], s[14:15], v[150:151]
	v_add_f64 v[132:133], v[136:137], v[132:133]
	v_fma_f64 v[136:137], v[82:83], s[16:17], v[104:105]
	v_fma_f64 v[82:83], v[82:83], s[16:17], -v[104:105]
	v_mul_f64 v[94:95], v[94:95], s[24:25]
	v_add_f64 v[4:5], v[78:79], v[4:5]
	v_add_f64 v[68:69], v[12:13], v[68:69]
	;; [unrolled: 1-line block ×3, first 2 shown]
	v_fma_f64 v[78:79], v[80:81], s[4:5], v[102:103]
	v_fma_f64 v[102:103], v[80:81], s[4:5], -v[102:103]
	v_fma_f64 v[124:125], v[80:81], s[22:23], -v[138:139]
	v_fma_f64 v[104:105], v[80:81], s[22:23], v[138:139]
	v_add_f64 v[76:77], v[76:77], v[130:131]
	v_add_f64 v[74:75], v[92:93], v[74:75]
	;; [unrolled: 1-line block ×4, first 2 shown]
	v_fma_f64 v[96:97], v[80:81], s[20:21], v[100:101]
	v_fma_f64 v[98:99], v[80:81], s[20:21], -v[100:101]
	v_add_f64 v[100:101], v[114:115], v[112:113]
	v_fma_f64 v[114:115], v[80:81], s[18:19], -v[140:141]
	v_add_f64 v[120:121], v[120:121], v[128:129]
	v_fma_f64 v[128:129], v[80:81], s[16:17], v[134:135]
	v_fma_f64 v[130:131], v[80:81], s[16:17], -v[134:135]
	v_fma_f64 v[134:135], v[80:81], s[14:15], -v[142:143]
	v_add_f64 v[118:119], v[144:145], v[118:119]
	v_fma_f64 v[112:113], v[80:81], s[18:19], v[140:141]
	v_add_f64 v[132:133], v[136:137], v[132:133]
	v_fma_f64 v[136:137], v[80:81], s[14:15], v[142:143]
	v_fma_f64 v[138:139], v[80:81], s[8:9], -v[94:95]
	v_add_f64 v[4:5], v[82:83], v[4:5]
	v_add_f64 v[68:69], v[8:9], v[68:69]
	v_fma_f64 v[80:81], v[80:81], s[8:9], v[94:95]
	v_add_f64 v[70:71], v[102:103], v[70:71]
	v_add_f64 v[102:103], v[124:125], v[116:117]
	;; [unrolled: 1-line block ×16, first 2 shown]
	ds_write2_b64 v89, v[102:103], v[70:71] offset0:6 offset1:7
	ds_write2_b64 v89, v[82:83], v[90:91] offset0:8 offset1:9
	;; [unrolled: 1-line block ×7, first 2 shown]
	ds_write2_b64 v89, v[68:69], v[4:5] offset1:1
	ds_write_b64 v89, v[80:81] offset:128
.LBB0_13:
	s_or_b32 exec_lo, exec_lo, s1
	v_add_f64 v[118:119], v[60:61], -v[0:1]
	v_add_f64 v[92:93], v[2:3], v[62:63]
	v_add_f64 v[102:103], v[64:65], -v[8:9]
	v_add_f64 v[64:65], v[10:11], v[66:67]
	;; [unrolled: 2-line block ×7, first 2 shown]
	v_add_f64 v[12:13], v[36:37], -v[32:33]
	v_lshl_add_u32 v120, v88, 3, 0
	s_waitcnt lgkmcnt(0)
	s_barrier
	buffer_gl0_inv
	v_add_nc_u32_e32 v122, 0x800, v120
	v_add_nc_u32_e32 v89, 0x400, v120
	v_mul_f64 v[94:95], v[118:119], s[24:25]
	v_add_nc_u32_e32 v121, 0x1000, v120
	v_mul_f64 v[96:97], v[102:103], s[26:27]
	ds_read2_b64 v[68:71], v120 offset1:102
	ds_read2_b64 v[72:75], v89 offset0:76 offset1:178
	v_mul_f64 v[98:99], v[104:105], s[28:29]
	v_mul_f64 v[100:101], v[106:107], s[30:31]
	;; [unrolled: 1-line block ×5, first 2 shown]
	v_fma_f64 v[0:1], v[92:93], s[8:9], -v[94:95]
	v_fma_f64 v[4:5], v[64:65], s[14:15], -v[96:97]
	v_fma_f64 v[8:9], v[60:61], s[16:17], -v[98:99]
	v_fma_f64 v[36:37], v[16:17], s[4:5], -v[20:21]
	v_add_f64 v[0:1], v[6:7], v[0:1]
	v_add_f64 v[0:1], v[4:5], v[0:1]
	v_fma_f64 v[4:5], v[52:53], s[18:19], -v[100:101]
	v_add_f64 v[0:1], v[8:9], v[0:1]
	v_fma_f64 v[8:9], v[48:49], s[20:21], -v[44:45]
	;; [unrolled: 2-line block ×3, first 2 shown]
	v_add_f64 v[32:33], v[8:9], v[0:1]
	v_add_f64 v[0:1], v[34:35], v[38:39]
	v_mul_f64 v[8:9], v[12:13], s[40:41]
	v_add_f64 v[4:5], v[4:5], v[32:33]
	v_fma_f64 v[32:33], v[0:1], s[6:7], -v[8:9]
	v_add_f64 v[4:5], v[36:37], v[4:5]
	v_add_f64 v[56:57], v[32:33], v[4:5]
	ds_read2_b64 v[80:83], v122 offset0:152 offset1:254
	ds_read2_b64 v[76:79], v121 offset0:100 offset1:202
	ds_read_b64 v[4:5], v120 offset:6528
	s_waitcnt lgkmcnt(0)
	s_barrier
	buffer_gl0_inv
	s_and_saveexec_b32 s33, s0
	s_cbranch_execz .LBB0_15
; %bb.14:
	v_add_f64 v[123:124], v[62:63], v[6:7]
	s_mov_b32 s42, 0x5d8e7cdc
	s_mov_b32 s43, 0xbfd71e95
	v_mul_f64 v[32:33], v[92:93], s[8:9]
	v_mul_f64 v[36:37], v[64:65], s[14:15]
	;; [unrolled: 1-line block ×4, first 2 shown]
	s_mov_b32 s44, 0x2a9d6da3
	s_mov_b32 s54, 0x7c9e640b
	;; [unrolled: 1-line block ×11, first 2 shown]
	v_mul_f64 v[62:63], v[60:61], s[16:17]
	v_mul_f64 v[112:113], v[52:53], s[18:19]
	;; [unrolled: 1-line block ×3, first 2 shown]
	s_mov_b32 s1, 0x3fedd6d0
	v_add_f64 v[66:67], v[66:67], v[123:124]
	v_mul_f64 v[127:128], v[118:119], s[44:45]
	v_mul_f64 v[129:130], v[118:119], s[54:55]
	;; [unrolled: 1-line block ×7, first 2 shown]
	v_add_f64 v[32:33], v[32:33], v[94:95]
	v_add_f64 v[36:37], v[36:37], v[96:97]
	v_fma_f64 v[94:95], v[92:93], s[0:1], v[125:126]
	v_fma_f64 v[96:97], v[92:93], s[0:1], -v[125:126]
	s_mov_b32 s8, 0x75d4884
	s_mov_b32 s14, 0x2b2883cd
	;; [unrolled: 1-line block ×10, first 2 shown]
	v_add_f64 v[66:67], v[58:59], v[66:67]
	s_mov_b32 s17, 0xbfd183b1
	s_mov_b32 s19, 0xbfe348c8
	;; [unrolled: 1-line block ×10, first 2 shown]
	v_mul_f64 v[139:140], v[102:103], s[46:47]
	v_mul_f64 v[141:142], v[102:103], s[24:25]
	;; [unrolled: 1-line block ×6, first 2 shown]
	v_add_f64 v[44:45], v[114:115], v[44:45]
	v_add_f64 v[28:29], v[116:117], v[28:29]
	v_fma_f64 v[114:115], v[92:93], s[14:15], -v[129:130]
	v_fma_f64 v[116:117], v[92:93], s[30:31], v[131:132]
	v_fma_f64 v[125:126], v[92:93], s[30:31], -v[131:132]
	v_add_f64 v[54:55], v[54:55], v[66:67]
	v_fma_f64 v[131:132], v[92:93], s[18:19], v[135:136]
	v_mul_f64 v[145:146], v[104:105], s[54:55]
	v_add_f64 v[32:33], v[6:7], v[32:33]
	v_add_f64 v[94:95], v[6:7], v[94:95]
	;; [unrolled: 1-line block ×3, first 2 shown]
	s_mov_b32 s26, 0x7faef3
	s_mov_b32 s27, 0xbfef7484
	s_mov_b32 s53, 0x3fc7851a
	s_mov_b32 s39, 0x3fe58eea
	s_mov_b32 s52, s36
	s_mov_b32 s38, s44
	v_mul_f64 v[66:67], v[104:105], s[24:25]
	v_mul_f64 v[147:148], v[104:105], s[42:43]
	;; [unrolled: 1-line block ×6, first 2 shown]
	v_fma_f64 v[205:206], v[64:65], s[18:19], v[141:142]
	v_fma_f64 v[141:142], v[64:65], s[18:19], -v[141:142]
	v_fma_f64 v[207:208], v[64:65], s[26:27], v[143:144]
	v_fma_f64 v[143:144], v[64:65], s[26:27], -v[143:144]
	v_add_f64 v[50:51], v[50:51], v[54:55]
	v_fma_f64 v[243:244], v[64:65], s[16:17], v[185:186]
	v_fma_f64 v[185:186], v[64:65], s[16:17], -v[185:186]
	v_fma_f64 v[245:246], v[64:65], s[14:15], v[102:103]
	v_mul_f64 v[151:152], v[106:107], s[46:47]
	v_fma_f64 v[209:210], v[60:61], s[14:15], v[145:146]
	v_fma_f64 v[145:146], v[60:61], s[14:15], -v[145:146]
	v_add_f64 v[32:33], v[36:37], v[32:33]
	s_mov_b32 s41, 0x3fd71e95
	s_mov_b32 s57, 0x3fe9895b
	;; [unrolled: 1-line block ×4, first 2 shown]
	v_mul_f64 v[153:154], v[106:107], s[36:37]
	v_mul_f64 v[155:156], v[106:107], s[54:55]
	;; [unrolled: 1-line block ×6, first 2 shown]
	v_fma_f64 v[211:212], v[60:61], s[18:19], v[66:67]
	v_fma_f64 v[66:67], v[60:61], s[18:19], -v[66:67]
	v_fma_f64 v[213:214], v[60:61], s[0:1], v[147:148]
	v_fma_f64 v[147:148], v[60:61], s[0:1], -v[147:148]
	v_add_f64 v[46:47], v[46:47], v[50:51]
	v_add_f64 v[50:51], v[62:63], v[98:99]
	;; [unrolled: 1-line block ×3, first 2 shown]
	v_fma_f64 v[98:99], v[92:93], s[8:9], v[127:128]
	v_fma_f64 v[100:101], v[92:93], s[8:9], -v[127:128]
	v_fma_f64 v[112:113], v[92:93], s[14:15], v[129:130]
	v_fma_f64 v[127:128], v[92:93], s[16:17], v[133:134]
	v_fma_f64 v[129:130], v[92:93], s[16:17], -v[133:134]
	v_fma_f64 v[133:134], v[92:93], s[18:19], -v[135:136]
	v_fma_f64 v[135:136], v[92:93], s[22:23], v[118:119]
	v_fma_f64 v[92:93], v[92:93], s[22:23], -v[118:119]
	v_fma_f64 v[118:119], v[64:65], s[8:9], v[137:138]
	v_fma_f64 v[215:216], v[60:61], s[30:31], v[149:150]
	v_fma_f64 v[149:150], v[60:61], s[30:31], -v[149:150]
	v_mul_f64 v[159:160], v[108:109], s[20:21]
	v_fma_f64 v[217:218], v[52:53], s[30:31], v[151:152]
	v_fma_f64 v[151:152], v[52:53], s[30:31], -v[151:152]
	s_mov_b32 s59, 0x3fefdd0d
	v_mul_f64 v[161:162], v[108:109], s[54:55]
	v_mul_f64 v[163:164], v[108:109], s[36:37]
	;; [unrolled: 1-line block ×3, first 2 shown]
	s_mov_b32 s58, s46
	v_add_f64 v[42:43], v[42:43], v[46:47]
	v_fma_f64 v[46:47], v[64:65], s[8:9], -v[137:138]
	v_fma_f64 v[137:138], v[64:65], s[30:31], v[139:140]
	v_fma_f64 v[139:140], v[64:65], s[30:31], -v[139:140]
	v_add_f64 v[98:99], v[6:7], v[98:99]
	v_add_f64 v[100:101], v[6:7], v[100:101]
	;; [unrolled: 1-line block ×3, first 2 shown]
	v_mul_f64 v[195:196], v[108:109], s[48:49]
	v_fma_f64 v[219:220], v[52:53], s[26:27], v[153:154]
	v_fma_f64 v[153:154], v[52:53], s[26:27], -v[153:154]
	v_fma_f64 v[221:222], v[52:53], s[14:15], v[155:156]
	v_add_f64 v[36:37], v[118:119], v[94:95]
	v_fma_f64 v[155:156], v[52:53], s[14:15], -v[155:156]
	v_mul_f64 v[197:198], v[108:109], s[38:39]
	v_mul_f64 v[167:168], v[110:111], s[24:25]
	;; [unrolled: 1-line block ×3, first 2 shown]
	v_fma_f64 v[223:224], v[48:49], s[16:17], v[159:160]
	v_fma_f64 v[159:160], v[48:49], s[16:17], -v[159:160]
	v_mul_f64 v[169:170], v[110:111], s[42:43]
	v_mul_f64 v[171:172], v[110:111], s[28:29]
	;; [unrolled: 1-line block ×4, first 2 shown]
	v_add_f64 v[38:39], v[38:39], v[42:43]
	v_add_f64 v[46:47], v[46:47], v[96:97]
	v_fma_f64 v[42:43], v[52:53], s[22:23], v[157:158]
	v_fma_f64 v[157:158], v[52:53], s[22:23], -v[157:158]
	v_add_f64 v[94:95], v[137:138], v[98:99]
	v_add_f64 v[96:97], v[139:140], v[100:101]
	;; [unrolled: 1-line block ×3, first 2 shown]
	v_mul_f64 v[54:55], v[40:41], s[28:29]
	v_mul_f64 v[199:200], v[110:111], s[50:51]
	;; [unrolled: 1-line block ×3, first 2 shown]
	v_fma_f64 v[225:226], v[48:49], s[14:15], v[161:162]
	v_add_f64 v[36:37], v[209:210], v[36:37]
	v_fma_f64 v[161:162], v[48:49], s[14:15], -v[161:162]
	v_fma_f64 v[227:228], v[48:49], s[26:27], v[163:164]
	v_fma_f64 v[163:164], v[48:49], s[26:27], -v[163:164]
	v_fma_f64 v[229:230], v[48:49], s[0:1], v[165:166]
	;; [unrolled: 2-line block ×3, first 2 shown]
	v_fma_f64 v[167:168], v[24:25], s[18:19], -v[167:168]
	v_mul_f64 v[123:124], v[16:17], s[4:5]
	v_mul_f64 v[177:178], v[40:41], s[46:47]
	;; [unrolled: 1-line block ×3, first 2 shown]
	v_add_f64 v[34:35], v[34:35], v[38:39]
	v_fma_f64 v[38:39], v[64:65], s[22:23], v[183:184]
	v_fma_f64 v[183:184], v[64:65], s[22:23], -v[183:184]
	v_fma_f64 v[64:65], v[64:65], s[14:15], -v[102:103]
	v_add_f64 v[102:103], v[6:7], v[112:113]
	v_add_f64 v[112:113], v[6:7], v[114:115]
	;; [unrolled: 1-line block ×10, first 2 shown]
	v_fma_f64 v[92:93], v[60:61], s[26:27], -v[187:188]
	v_fma_f64 v[135:136], v[60:61], s[16:17], v[189:190]
	v_add_f64 v[46:47], v[145:146], v[46:47]
	v_add_f64 v[50:51], v[211:212], v[94:95]
	;; [unrolled: 1-line block ×5, first 2 shown]
	v_mul_f64 v[181:182], v[40:41], s[36:37]
	v_add_f64 v[30:31], v[30:31], v[34:35]
	v_fma_f64 v[34:35], v[60:61], s[26:27], v[187:188]
	v_fma_f64 v[187:188], v[60:61], s[16:17], -v[189:190]
	v_fma_f64 v[189:190], v[60:61], s[8:9], v[104:105]
	v_fma_f64 v[60:61], v[60:61], s[8:9], -v[104:105]
	v_add_f64 v[98:99], v[205:206], v[102:103]
	v_add_f64 v[100:101], v[141:142], v[112:113]
	;; [unrolled: 1-line block ×10, first 2 shown]
	v_fma_f64 v[64:65], v[52:53], s[16:17], -v[191:192]
	v_fma_f64 v[125:126], v[52:53], s[0:1], v[193:194]
	v_fma_f64 v[127:128], v[52:53], s[0:1], -v[193:194]
	v_fma_f64 v[129:130], v[52:53], s[18:19], v[106:107]
	v_add_f64 v[46:47], v[151:152], v[46:47]
	v_add_f64 v[50:51], v[219:220], v[50:51]
	;; [unrolled: 1-line block ×4, first 2 shown]
	v_fma_f64 v[30:31], v[52:53], s[16:17], v[191:192]
	v_fma_f64 v[52:53], v[52:53], s[18:19], -v[106:107]
	v_fma_f64 v[106:107], v[48:49], s[8:9], v[197:198]
	v_add_f64 v[36:37], v[223:224], v[36:37]
	v_add_f64 v[34:35], v[34:35], v[98:99]
	;; [unrolled: 1-line block ×11, first 2 shown]
	v_fma_f64 v[104:105], v[48:49], s[22:23], -v[195:196]
	v_fma_f64 v[112:113], v[48:49], s[8:9], -v[197:198]
	v_fma_f64 v[114:115], v[48:49], s[30:31], v[108:109]
	v_mul_f64 v[201:202], v[40:41], s[34:35]
	v_add_f64 v[44:45], v[159:160], v[46:47]
	v_mul_f64 v[203:204], v[40:41], s[56:57]
	v_mul_f64 v[40:41], v[40:41], s[38:39]
	v_add_f64 v[22:23], v[22:23], v[26:27]
	v_fma_f64 v[26:27], v[48:49], s[22:23], v[195:196]
	v_fma_f64 v[48:49], v[48:49], s[30:31], -v[108:109]
	v_fma_f64 v[233:234], v[24:25], s[0:1], v[169:170]
	v_fma_f64 v[169:170], v[24:25], s[0:1], -v[169:170]
	v_add_f64 v[30:31], v[30:31], v[34:35]
	v_add_f64 v[34:35], v[64:65], v[92:93]
	;; [unrolled: 1-line block ×10, first 2 shown]
	v_fma_f64 v[235:236], v[24:25], s[22:23], v[171:172]
	v_fma_f64 v[171:172], v[24:25], s[22:23], -v[171:172]
	v_fma_f64 v[237:238], v[24:25], s[8:9], v[173:174]
	v_fma_f64 v[173:174], v[24:25], s[8:9], -v[173:174]
	;; [unrolled: 2-line block ×3, first 2 shown]
	v_fma_f64 v[241:242], v[16:17], s[22:23], v[54:55]
	v_add_f64 v[18:19], v[18:19], v[22:23]
	v_fma_f64 v[22:23], v[16:17], s[22:23], -v[54:55]
	v_fma_f64 v[54:55], v[24:25], s[16:17], v[199:200]
	v_fma_f64 v[96:97], v[24:25], s[16:17], -v[199:200]
	v_fma_f64 v[98:99], v[24:25], s[30:31], v[110:111]
	v_fma_f64 v[24:25], v[24:25], s[30:31], -v[110:111]
	v_add_f64 v[26:27], v[26:27], v[50:51]
	v_add_f64 v[46:47], v[104:105], v[62:63]
	;; [unrolled: 1-line block ×15, first 2 shown]
	v_fma_f64 v[52:53], v[16:17], s[30:31], v[177:178]
	v_add_f64 v[14:15], v[14:15], v[18:19]
	v_fma_f64 v[18:19], v[16:17], s[30:31], -v[177:178]
	v_fma_f64 v[66:67], v[16:17], s[0:1], v[179:180]
	v_fma_f64 v[92:93], v[16:17], s[14:15], v[201:202]
	v_fma_f64 v[94:95], v[16:17], s[14:15], -v[201:202]
	v_fma_f64 v[100:101], v[16:17], s[18:19], v[203:204]
	v_fma_f64 v[102:103], v[16:17], s[18:19], -v[203:204]
	v_add_f64 v[26:27], v[54:55], v[26:27]
	v_add_f64 v[44:45], v[96:97], v[46:47]
	;; [unrolled: 1-line block ×7, first 2 shown]
	v_fma_f64 v[60:61], v[16:17], s[26:27], v[181:182]
	v_fma_f64 v[62:63], v[16:17], s[26:27], -v[181:182]
	v_fma_f64 v[64:65], v[16:17], s[8:9], v[40:41]
	v_add_f64 v[20:21], v[123:124], v[20:21]
	v_add_f64 v[30:31], v[233:234], v[30:31]
	;; [unrolled: 1-line block ×3, first 2 shown]
	v_mul_f64 v[96:97], v[12:13], s[40:41]
	v_mul_f64 v[98:99], v[12:13], s[28:29]
	v_add_f64 v[10:11], v[10:11], v[14:15]
	v_fma_f64 v[14:15], v[16:17], s[0:1], -v[179:180]
	v_fma_f64 v[16:17], v[16:17], s[8:9], -v[40:41]
	v_mul_f64 v[40:41], v[12:13], s[36:37]
	v_add_f64 v[34:35], v[169:170], v[34:35]
	v_add_f64 v[42:43], v[237:238], v[42:43]
	;; [unrolled: 1-line block ×3, first 2 shown]
	v_mul_f64 v[104:105], v[12:13], s[38:39]
	v_add_f64 v[22:23], v[22:23], v[36:37]
	v_mul_f64 v[36:37], v[12:13], s[24:25]
	v_mul_f64 v[106:107], v[12:13], s[34:35]
	;; [unrolled: 1-line block ×4, first 2 shown]
	v_add_f64 v[32:33], v[241:242], v[32:33]
	v_add_f64 v[26:27], v[92:93], v[26:27]
	;; [unrolled: 1-line block ×5, first 2 shown]
	v_fma_f64 v[52:53], v[0:1], s[22:23], v[98:99]
	v_add_f64 v[2:3], v[2:3], v[10:11]
	v_add_f64 v[14:15], v[14:15], v[24:25]
	;; [unrolled: 1-line block ×4, first 2 shown]
	v_fma_f64 v[20:21], v[0:1], s[26:27], v[40:41]
	v_fma_f64 v[28:29], v[0:1], s[0:1], v[96:97]
	v_add_f64 v[18:19], v[18:19], v[34:35]
	v_add_f64 v[34:35], v[100:101], v[46:47]
	;; [unrolled: 1-line block ×5, first 2 shown]
	v_fma_f64 v[54:55], v[0:1], s[8:9], v[104:105]
	v_fma_f64 v[62:63], v[0:1], s[18:19], v[36:37]
	;; [unrolled: 1-line block ×4, first 2 shown]
	v_add_f64 v[8:9], v[58:59], v[8:9]
	v_fma_f64 v[66:67], v[0:1], s[14:15], -v[106:107]
	v_fma_f64 v[12:13], v[0:1], s[16:17], -v[12:13]
	v_add_f64 v[46:47], v[102:103], v[50:51]
	v_fma_f64 v[60:61], v[0:1], s[8:9], -v[104:105]
	v_fma_f64 v[36:37], v[0:1], s[18:19], -v[36:37]
	;; [unrolled: 1-line block ×5, first 2 shown]
	v_add_f64 v[10:11], v[20:21], v[32:33]
	v_add_f64 v[20:21], v[28:29], v[26:27]
	;; [unrolled: 1-line block ×10, first 2 shown]
	v_lshl_add_u32 v16, v88, 7, v120
	v_add_f64 v[32:33], v[60:61], v[46:47]
	v_add_f64 v[12:13], v[36:37], v[14:15]
	;; [unrolled: 1-line block ×5, first 2 shown]
	ds_write2_b64 v16, v[2:3], v[10:11] offset1:1
	ds_write2_b64 v16, v[20:21], v[28:29] offset0:2 offset1:3
	ds_write2_b64 v16, v[30:31], v[34:35] offset0:4 offset1:5
	;; [unrolled: 1-line block ×7, first 2 shown]
	ds_write_b64 v16, v[0:1] offset:128
.LBB0_15:
	s_or_b32 exec_lo, exec_lo, s33
	v_and_b32_e32 v0, 0xff, v88
	v_mov_b32_e32 v1, 7
	s_load_dwordx2 s[2:3], s[2:3], 0x0
	s_waitcnt lgkmcnt(0)
	s_barrier
	v_mul_lo_u16 v0, 0xf1, v0
	buffer_gl0_inv
	s_mov_b32 s14, 0x523c161c
	s_mov_b32 s4, 0x8c811c17
	s_mov_b32 s6, 0xa2cf5039
	v_lshrrev_b16 v94, 12, v0
	s_mov_b32 s15, 0x3fe491b7
	s_mov_b32 s5, 0x3fef838b
	;; [unrolled: 1-line block ×4, first 2 shown]
	v_mul_lo_u16 v0, v94, 17
	s_mov_b32 s8, s14
	s_mov_b32 s20, 0x7e0b738b
	;; [unrolled: 1-line block ×4, first 2 shown]
	v_sub_nc_u16 v95, v88, v0
	s_mov_b32 s19, 0x3febb67a
	s_mov_b32 s17, 0xbfebb67a
	s_mov_b32 s16, s18
	s_mov_b32 s24, 0x748a0bf8
	v_lshlrev_b32_sdwa v0, v1, v95 dst_sel:DWORD dst_unused:UNUSED_PAD src0_sel:DWORD src1_sel:BYTE_0
	s_mov_b32 s22, 0x42522d1b
	s_mov_b32 s25, 0x3fd5e3a8
	;; [unrolled: 1-line block ×3, first 2 shown]
	v_cmp_gt_u32_e64 s0, 51, v88
	s_clause 0x7
	global_load_dwordx4 v[6:9], v0, s[12:13]
	global_load_dwordx4 v[10:13], v0, s[12:13] offset:16
	global_load_dwordx4 v[14:17], v0, s[12:13] offset:48
	;; [unrolled: 1-line block ×7, first 2 shown]
	ds_read2_b64 v[0:3], v120 offset1:102
	ds_read2_b64 v[58:61], v89 offset0:76 offset1:178
	ds_read2_b64 v[26:29], v122 offset0:152 offset1:254
	;; [unrolled: 1-line block ×3, first 2 shown]
	ds_read_b64 v[18:19], v120 offset:6528
	s_waitcnt vmcnt(0) lgkmcnt(0)
	s_barrier
	buffer_gl0_inv
	v_mul_f64 v[20:21], v[2:3], v[8:9]
	v_mul_f64 v[24:25], v[58:59], v[12:13]
	;; [unrolled: 1-line block ×12, first 2 shown]
	v_fma_f64 v[30:31], v[70:71], v[6:7], -v[20:21]
	v_fma_f64 v[24:25], v[72:73], v[10:11], -v[24:25]
	v_fma_f64 v[20:21], v[26:27], v[14:15], v[32:33]
	v_fma_f64 v[26:27], v[18:19], v[36:37], v[34:35]
	v_fma_f64 v[18:19], v[28:29], v[40:41], v[66:67]
	v_fma_f64 v[28:29], v[78:79], v[44:45], -v[92:93]
	v_fma_f64 v[32:33], v[80:81], v[14:15], -v[16:17]
	;; [unrolled: 1-line block ×3, first 2 shown]
	v_fma_f64 v[22:23], v[2:3], v[6:7], v[8:9]
	v_fma_f64 v[40:41], v[4:5], v[36:37], -v[38:39]
	v_mul_f64 v[2:3], v[60:61], v[50:51]
	v_mul_f64 v[6:7], v[62:63], v[54:55]
	;; [unrolled: 1-line block ×4, first 2 shown]
	v_fma_f64 v[36:37], v[58:59], v[10:11], v[12:13]
	v_fma_f64 v[38:39], v[64:65], v[44:45], v[46:47]
	v_add_f64 v[12:13], v[20:21], -v[18:19]
	v_add_f64 v[14:15], v[24:25], v[28:29]
	v_add_f64 v[16:17], v[32:33], v[34:35]
	v_add_f64 v[10:11], v[22:23], -v[26:27]
	v_add_f64 v[50:51], v[30:31], v[40:41]
	v_fma_f64 v[42:43], v[74:75], v[48:49], -v[2:3]
	v_fma_f64 v[44:45], v[76:77], v[52:53], -v[6:7]
	v_fma_f64 v[46:47], v[60:61], v[48:49], v[4:5]
	v_fma_f64 v[48:49], v[62:63], v[52:53], v[8:9]
	v_add_f64 v[2:3], v[36:37], -v[38:39]
	v_mul_f64 v[6:7], v[12:13], s[8:9]
	v_mul_f64 v[8:9], v[12:13], s[4:5]
	v_fma_f64 v[52:53], v[14:15], s[6:7], v[68:69]
	v_fma_f64 v[54:55], v[16:17], s[6:7], v[68:69]
	v_mul_f64 v[4:5], v[10:11], s[14:15]
	v_fma_f64 v[58:59], v[50:51], s[6:7], v[68:69]
	v_add_f64 v[62:63], v[14:15], v[50:51]
	v_add_f64 v[60:61], v[42:43], v[44:45]
	;; [unrolled: 1-line block ×3, first 2 shown]
	v_add_f64 v[64:65], v[46:47], -v[48:49]
	v_fma_f64 v[6:7], v[10:11], s[4:5], v[6:7]
	v_fma_f64 v[8:9], v[2:3], s[8:9], -v[8:9]
	v_fma_f64 v[52:53], v[16:17], s[20:21], v[52:53]
	v_fma_f64 v[54:55], v[50:51], s[20:21], v[54:55]
	;; [unrolled: 1-line block ×4, first 2 shown]
	v_add_f64 v[72:73], v[16:17], v[62:63]
	v_add_f64 v[62:63], v[60:61], v[62:63]
	;; [unrolled: 1-line block ×3, first 2 shown]
	v_fma_f64 v[6:7], v[64:65], s[16:17], v[6:7]
	v_fma_f64 v[8:9], v[64:65], s[18:19], v[8:9]
	v_fma_f64 v[52:53], v[60:61], -0.5, v[52:53]
	v_fma_f64 v[54:55], v[60:61], -0.5, v[54:55]
	v_fma_f64 v[4:5], v[64:65], s[18:19], v[4:5]
	v_fma_f64 v[58:59], v[60:61], -0.5, v[58:59]
	v_add_f64 v[60:61], v[66:67], -v[2:3]
	v_add_f64 v[62:63], v[32:33], v[62:63]
	v_fma_f64 v[64:65], v[72:73], -0.5, v[70:71]
	v_fma_f64 v[2:3], v[2:3], s[24:25], v[6:7]
	v_fma_f64 v[6:7], v[10:11], s[24:25], v[8:9]
	;; [unrolled: 1-line block ×6, first 2 shown]
	v_mul_f64 v[14:15], v[60:61], s[18:19]
	v_add_f64 v[16:17], v[34:35], v[62:63]
	v_fma_f64 v[52:53], v[60:61], s[18:19], v[64:65]
	v_add_nc_u32_e32 v51, 0xc00, v120
	v_add_f64 v[8:9], v[6:7], v[8:9]
	v_add_f64 v[10:11], v[2:3], v[10:11]
	;; [unrolled: 1-line block ×4, first 2 shown]
	v_fma_f64 v[14:15], v[14:15], -2.0, v[52:53]
	v_fma_f64 v[6:7], v[6:7], -2.0, v[8:9]
	;; [unrolled: 1-line block ×4, first 2 shown]
	v_mov_b32_e32 v4, 0x4c8
	v_mov_b32_e32 v5, 3
	v_mul_u32_u24_sdwa v4, v94, v4 dst_sel:DWORD dst_unused:UNUSED_PAD src0_sel:WORD_0 src1_sel:DWORD
	v_lshlrev_b32_sdwa v5, v5, v95 dst_sel:DWORD dst_unused:UNUSED_PAD src0_sel:DWORD src1_sel:BYTE_0
	v_add3_u32 v50, 0, v4, v5
	ds_write2_b64 v50, v[16:17], v[12:13] offset1:17
	ds_write2_b64 v50, v[10:11], v[52:53] offset0:34 offset1:51
	ds_write2_b64 v50, v[8:9], v[6:7] offset0:68 offset1:85
	;; [unrolled: 1-line block ×3, first 2 shown]
	ds_write_b64 v50, v[58:59] offset:1088
	s_waitcnt lgkmcnt(0)
	s_barrier
	buffer_gl0_inv
	ds_read2_b64 v[10:13], v120 offset1:102
	ds_read2_b64 v[6:9], v51 offset0:75 offset1:177
	ds_read2_b64 v[14:17], v89 offset0:76 offset1:178
	;; [unrolled: 1-line block ×3, first 2 shown]
	s_and_saveexec_b32 s1, s0
	s_cbranch_execz .LBB0_17
; %bb.16:
	ds_read_b64 v[58:59], v120 offset:3264
	ds_read_b64 v[90:91], v120 offset:6936
.LBB0_17:
	s_or_b32 exec_lo, exec_lo, s1
	v_add_f64 v[32:33], v[32:33], -v[34:35]
	v_add_f64 v[34:35], v[36:37], v[38:39]
	v_add_f64 v[30:31], v[30:31], -v[40:41]
	v_add_f64 v[36:37], v[20:21], v[18:19]
	v_add_f64 v[22:23], v[22:23], v[26:27]
	v_add_f64 v[24:25], v[24:25], -v[28:29]
	v_add_f64 v[46:47], v[46:47], v[48:49]
	v_add_f64 v[42:43], v[42:43], -v[44:45]
	s_waitcnt lgkmcnt(0)
	s_barrier
	buffer_gl0_inv
	v_mul_f64 v[28:29], v[32:33], s[8:9]
	v_mul_f64 v[38:39], v[32:33], s[4:5]
	v_fma_f64 v[40:41], v[34:35], s[6:7], v[0:1]
	v_mul_f64 v[26:27], v[30:31], s[14:15]
	v_fma_f64 v[52:53], v[36:37], s[6:7], v[0:1]
	v_fma_f64 v[54:55], v[22:23], s[6:7], v[0:1]
	v_add_f64 v[48:49], v[34:35], v[22:23]
	v_add_f64 v[60:61], v[0:1], v[46:47]
	v_fma_f64 v[28:29], v[30:31], s[4:5], v[28:29]
	v_fma_f64 v[38:39], v[24:25], s[8:9], -v[38:39]
	v_fma_f64 v[40:41], v[36:37], s[20:21], v[40:41]
	v_fma_f64 v[26:27], v[24:25], s[4:5], v[26:27]
	;; [unrolled: 1-line block ×4, first 2 shown]
	v_add_f64 v[62:63], v[36:37], v[48:49]
	v_add_f64 v[48:49], v[46:47], v[48:49]
	;; [unrolled: 1-line block ×3, first 2 shown]
	v_fma_f64 v[28:29], v[42:43], s[16:17], v[28:29]
	v_fma_f64 v[38:39], v[42:43], s[18:19], v[38:39]
	v_fma_f64 v[40:41], v[46:47], -0.5, v[40:41]
	v_fma_f64 v[26:27], v[42:43], s[18:19], v[26:27]
	v_fma_f64 v[42:43], v[46:47], -0.5, v[44:45]
	v_fma_f64 v[44:45], v[46:47], -0.5, v[52:53]
	;; [unrolled: 1-line block ×3, first 2 shown]
	v_add_f64 v[20:21], v[20:21], v[48:49]
	v_add_f64 v[46:47], v[54:55], -v[24:25]
	v_fma_f64 v[24:25], v[24:25], s[24:25], v[28:29]
	v_fma_f64 v[28:29], v[30:31], s[24:25], v[38:39]
	;; [unrolled: 1-line block ×6, first 2 shown]
	v_add_f64 v[18:19], v[18:19], v[20:21]
	v_mul_f64 v[34:35], v[46:47], s[18:19]
	v_fma_f64 v[20:21], v[46:47], s[16:17], v[52:53]
	v_add_f64 v[22:23], v[22:23], -v[28:29]
	v_add_f64 v[30:31], v[30:31], -v[24:25]
	;; [unrolled: 1-line block ×3, first 2 shown]
	v_add_f64 v[0:1], v[0:1], v[18:19]
	v_fma_f64 v[18:19], v[34:35], 2.0, v[20:21]
	v_add_nc_u32_e32 v34, 0x400, v120
	v_add_nc_u32_e32 v35, 0x1000, v120
	v_fma_f64 v[28:29], v[28:29], 2.0, v[22:23]
	v_fma_f64 v[24:25], v[24:25], 2.0, v[30:31]
	v_fma_f64 v[60:61], v[26:27], 2.0, v[32:33]
	ds_write2_b64 v50, v[0:1], v[32:33] offset1:17
	ds_write2_b64 v50, v[30:31], v[20:21] offset0:34 offset1:51
	ds_write2_b64 v50, v[22:23], v[28:29] offset0:68 offset1:85
	;; [unrolled: 1-line block ×3, first 2 shown]
	ds_write_b64 v50, v[60:61] offset:1088
	s_waitcnt lgkmcnt(0)
	s_barrier
	buffer_gl0_inv
	ds_read2_b64 v[18:21], v120 offset1:102
	ds_read2_b64 v[26:29], v51 offset0:75 offset1:177
	ds_read2_b64 v[22:25], v34 offset0:76 offset1:178
	;; [unrolled: 1-line block ×3, first 2 shown]
	s_and_saveexec_b32 s1, s0
	s_cbranch_execz .LBB0_19
; %bb.18:
	ds_read_b64 v[60:61], v120 offset:3264
	ds_read_b64 v[56:57], v120 offset:6936
.LBB0_19:
	s_or_b32 exec_lo, exec_lo, s1
	v_add_nc_u32_e32 v36, 0x132, v88
	v_mov_b32_e32 v63, 0x358b
	v_add_nc_u32_e32 v62, 0x66, v88
	v_subrev_nc_u32_e32 v1, 51, v88
	v_mov_b32_e32 v89, 0
	v_mul_u32_u24_sdwa v0, v36, v63 dst_sel:DWORD dst_unused:UNUSED_PAD src0_sel:WORD_0 src1_sel:DWORD
	v_lshlrev_b64 v[54:55], 4, v[88:89]
	v_lshrrev_b32_e32 v34, 21, v0
	v_cndmask_b32_e64 v0, v1, v62, s0
	v_mov_b32_e32 v1, v89
	v_mul_lo_u16 v37, 0x99, v34
	v_lshlrev_b64 v[34:35], 4, v[0:1]
	v_lshlrev_b32_e32 v0, 3, v0
	v_sub_nc_u16 v1, v36, v37
	v_add_co_u32 v36, s1, s12, v54
	v_add_co_ci_u32_e64 v37, s1, s13, v55, s1
	v_and_b32_e32 v1, 0xffff, v1
	v_add_co_u32 v36, s1, 0x800, v36
	v_add_co_ci_u32_e64 v37, s1, 0, v37, s1
	v_lshlrev_b32_e32 v38, 4, v1
	v_add_co_u32 v34, s1, s12, v34
	v_add_co_ci_u32_e64 v35, s1, s13, v35, s1
	v_add_co_u32 v38, s1, s12, v38
	v_add_co_ci_u32_e64 v39, null, s13, 0, s1
	v_add_co_u32 v34, s1, 0x800, v34
	v_add_co_ci_u32_e64 v35, s1, 0, v35, s1
	v_add_co_u32 v50, s1, 0x800, v38
	v_add_co_ci_u32_e64 v51, s1, 0, v39, s1
	s_clause 0x3
	global_load_dwordx4 v[38:41], v[36:37], off offset:128
	global_load_dwordx4 v[42:45], v[34:35], off offset:128
	;; [unrolled: 1-line block ×4, first 2 shown]
	v_add_nc_u32_e32 v34, 0x198, v88
	v_mul_u32_u24_sdwa v35, v34, v63 dst_sel:DWORD dst_unused:UNUSED_PAD src0_sel:WORD_0 src1_sel:DWORD
	v_lshrrev_b32_e32 v35, 21, v35
	v_mul_lo_u16 v35, 0x99, v35
	v_sub_nc_u16 v34, v34, v35
	v_and_b32_e32 v75, 0xffff, v34
	v_lshlrev_b32_e32 v34, 4, v75
	v_add_co_u32 v34, s1, s12, v34
	v_add_co_ci_u32_e64 v35, null, s13, 0, s1
	v_add_co_u32 v34, s1, 0x800, v34
	v_add_co_ci_u32_e64 v35, s1, 0, v35, s1
	v_cmp_lt_u32_e64 s1, 50, v88
	global_load_dwordx4 v[34:37], v[34:35], off offset:128
	s_waitcnt vmcnt(0) lgkmcnt(0)
	s_barrier
	buffer_gl0_inv
	v_mul_f64 v[63:64], v[26:27], v[40:41]
	v_mul_f64 v[65:66], v[28:29], v[44:45]
	;; [unrolled: 1-line block ×4, first 2 shown]
	v_fma_f64 v[63:64], v[6:7], v[38:39], -v[63:64]
	v_fma_f64 v[65:66], v[8:9], v[42:43], -v[65:66]
	;; [unrolled: 1-line block ×4, first 2 shown]
	v_add_f64 v[71:72], v[10:11], -v[63:64]
	v_add_f64 v[73:74], v[12:13], -v[65:66]
	;; [unrolled: 1-line block ×4, first 2 shown]
	v_cndmask_b32_e64 v63, 0, 0x990, s1
	v_lshl_add_u32 v66, v1, 3, 0
	v_add_nc_u32_e32 v65, 0x800, v120
	v_add3_u32 v64, 0, v63, v0
	v_lshl_add_u32 v63, v75, 3, 0
	v_add_nc_u32_e32 v0, 0x1000, v66
	v_fma_f64 v[10:11], v[10:11], 2.0, -v[71:72]
	v_fma_f64 v[12:13], v[12:13], 2.0, -v[73:74]
	;; [unrolled: 1-line block ×4, first 2 shown]
	ds_write2_b64 v120, v[10:11], v[71:72] offset1:153
	ds_write2_b64 v64, v[12:13], v[73:74] offset1:153
	ds_write2_b64 v65, v[14:15], v[67:68] offset0:101 offset1:254
	ds_write2_b64 v0, v[16:17], v[69:70] offset0:100 offset1:253
	s_and_saveexec_b32 s1, s0
	s_cbranch_execz .LBB0_21
; %bb.20:
	v_mul_f64 v[0:1], v[56:57], v[36:37]
	v_add_nc_u32_e32 v12, 0x1000, v63
	v_fma_f64 v[0:1], v[90:91], v[34:35], -v[0:1]
	v_add_f64 v[0:1], v[58:59], -v[0:1]
	v_fma_f64 v[10:11], v[58:59], 2.0, -v[0:1]
	ds_write2_b64 v12, v[10:11], v[0:1] offset0:100 offset1:253
.LBB0_21:
	s_or_b32 exec_lo, exec_lo, s1
	v_mul_f64 v[0:1], v[6:7], v[40:41]
	v_mul_f64 v[6:7], v[8:9], v[44:45]
	;; [unrolled: 1-line block ×4, first 2 shown]
	v_add_nc_u32_e32 v12, 0x1000, v120
	s_waitcnt lgkmcnt(0)
	s_barrier
	buffer_gl0_inv
	ds_read2_b64 v[8:11], v65 offset0:152 offset1:254
	v_fma_f64 v[0:1], v[26:27], v[38:39], v[0:1]
	v_fma_f64 v[6:7], v[28:29], v[42:43], v[6:7]
	;; [unrolled: 1-line block ×4, first 2 shown]
	v_add_nc_u32_e32 v38, 0x1000, v66
	v_add_f64 v[26:27], v[18:19], -v[0:1]
	v_add_f64 v[28:29], v[20:21], -v[6:7]
	;; [unrolled: 1-line block ×4, first 2 shown]
	v_add_nc_u32_e32 v4, 0x400, v120
	ds_read2_b64 v[0:3], v120 offset1:102
	ds_read_b64 v[16:17], v120 offset:6528
	ds_read2_b64 v[4:7], v4 offset0:76 offset1:178
	ds_read2_b64 v[12:15], v12 offset0:100 offset1:202
	s_waitcnt lgkmcnt(0)
	s_barrier
	buffer_gl0_inv
	v_fma_f64 v[18:19], v[18:19], 2.0, -v[26:27]
	v_fma_f64 v[20:21], v[20:21], 2.0, -v[28:29]
	v_fma_f64 v[22:23], v[22:23], 2.0, -v[30:31]
	v_fma_f64 v[24:25], v[24:25], 2.0, -v[32:33]
	ds_write2_b64 v120, v[18:19], v[26:27] offset1:153
	ds_write2_b64 v64, v[20:21], v[28:29] offset1:153
	ds_write2_b64 v65, v[22:23], v[30:31] offset0:101 offset1:254
	ds_write2_b64 v38, v[24:25], v[32:33] offset0:100 offset1:253
	s_and_saveexec_b32 s1, s0
	s_cbranch_execz .LBB0_23
; %bb.22:
	v_mul_f64 v[18:19], v[90:91], v[36:37]
	v_add_nc_u32_e32 v22, 0x1000, v63
	v_fma_f64 v[18:19], v[56:57], v[34:35], v[18:19]
	v_add_f64 v[18:19], v[60:61], -v[18:19]
	v_fma_f64 v[20:21], v[60:61], 2.0, -v[18:19]
	ds_write2_b64 v22, v[20:21], v[18:19] offset0:100 offset1:253
.LBB0_23:
	s_or_b32 exec_lo, exec_lo, s1
	s_waitcnt lgkmcnt(0)
	s_barrier
	buffer_gl0_inv
	s_and_saveexec_b32 s0, vcc_lo
	s_cbranch_execz .LBB0_25
; %bb.24:
	v_add_nc_u32_e32 v80, 0xcc, v88
	v_mov_b32_e32 v61, 0
	v_add_nc_u32_e32 v42, 0x800, v120
	v_add_nc_u32_e32 v46, 0x1000, v120
	;; [unrolled: 1-line block ×3, first 2 shown]
	v_lshlrev_b32_e32 v60, 1, v80
	v_mul_lo_u32 v56, s3, v86
	v_mul_lo_u32 v57, s2, v87
	v_mad_u64_u32 v[64:65], null, s2, v86, 0
	v_lshlrev_b64 v[18:19], 4, v[60:61]
	v_lshlrev_b32_e32 v60, 1, v62
	v_lshlrev_b64 v[78:79], 4, v[84:85]
	s_mov_b32 s0, 0xe8584caa
	s_mov_b32 s1, 0x3febb67a
	;; [unrolled: 1-line block ×3, first 2 shown]
	v_add_co_u32 v18, vcc_lo, s12, v18
	v_add_co_ci_u32_e32 v19, vcc_lo, s13, v19, vcc_lo
	v_lshlrev_b64 v[20:21], 4, v[60:61]
	v_add_co_u32 v22, vcc_lo, 0x1210, v18
	v_add_co_ci_u32_e32 v23, vcc_lo, 0, v19, vcc_lo
	v_add_co_u32 v18, vcc_lo, 0x1000, v18
	v_add_co_ci_u32_e32 v19, vcc_lo, 0, v19, vcc_lo
	v_lshlrev_b32_e32 v60, 1, v88
	v_add_co_u32 v28, vcc_lo, s12, v20
	v_add_co_ci_u32_e32 v29, vcc_lo, s13, v21, vcc_lo
	v_lshlrev_b64 v[26:27], 4, v[60:61]
	v_add_co_u32 v30, vcc_lo, 0x1210, v28
	v_add_co_ci_u32_e32 v31, vcc_lo, 0, v29, vcc_lo
	v_add_co_u32 v28, vcc_lo, 0x1000, v28
	v_add_co_ci_u32_e32 v29, vcc_lo, 0, v29, vcc_lo
	;; [unrolled: 2-line block ×3, first 2 shown]
	s_clause 0x1
	global_load_dwordx4 v[18:21], v[18:19], off offset:528
	global_load_dwordx4 v[22:25], v[22:23], off offset:16
	v_add_co_u32 v34, vcc_lo, 0x1000, v36
	v_add_co_ci_u32_e32 v35, vcc_lo, 0, v37, vcc_lo
	v_add_co_u32 v38, vcc_lo, 0x1210, v36
	v_add_co_ci_u32_e32 v39, vcc_lo, 0, v37, vcc_lo
	s_clause 0x3
	global_load_dwordx4 v[26:29], v[28:29], off offset:528
	global_load_dwordx4 v[30:33], v[30:31], off offset:16
	;; [unrolled: 1-line block ×4, first 2 shown]
	ds_read2_b64 v[42:45], v42 offset0:152 offset1:254
	ds_read_b64 v[62:63], v120 offset:6528
	ds_read2_b64 v[46:49], v46 offset0:100 offset1:202
	ds_read2_b64 v[50:53], v50 offset0:76 offset1:178
	v_add3_u32 v65, v65, v57, v56
	v_mul_hi_u32 v60, 0xd62b80d7, v80
	ds_read2_b64 v[56:59], v120 offset1:102
	s_mov_b32 s2, s0
	v_lshlrev_b64 v[64:65], 4, v[64:65]
	s_waitcnt vmcnt(5) lgkmcnt(4)
	v_mul_f64 v[66:67], v[44:45], v[20:21]
	v_mul_f64 v[20:21], v[10:11], v[20:21]
	s_waitcnt vmcnt(4)
	v_mul_f64 v[68:69], v[16:17], v[24:25]
	s_waitcnt lgkmcnt(3)
	v_mul_f64 v[24:25], v[62:63], v[24:25]
	s_waitcnt vmcnt(3)
	v_mul_f64 v[70:71], v[42:43], v[28:29]
	s_waitcnt vmcnt(2) lgkmcnt(2)
	v_mul_f64 v[72:73], v[48:49], v[32:33]
	v_mul_f64 v[28:29], v[8:9], v[28:29]
	;; [unrolled: 1-line block ×3, first 2 shown]
	s_waitcnt vmcnt(1) lgkmcnt(1)
	v_mul_f64 v[74:75], v[52:53], v[36:37]
	v_mul_f64 v[36:37], v[6:7], v[36:37]
	s_waitcnt vmcnt(0)
	v_mul_f64 v[76:77], v[12:13], v[40:41]
	v_mul_f64 v[40:41], v[46:47], v[40:41]
	v_fma_f64 v[10:11], v[10:11], v[18:19], -v[66:67]
	v_fma_f64 v[18:19], v[18:19], v[44:45], v[20:21]
	v_fma_f64 v[20:21], v[22:23], v[62:63], v[68:69]
	v_fma_f64 v[16:17], v[16:17], v[22:23], -v[24:25]
	v_fma_f64 v[8:9], v[8:9], v[26:27], -v[70:71]
	;; [unrolled: 1-line block ×3, first 2 shown]
	v_fma_f64 v[22:23], v[26:27], v[42:43], v[28:29]
	v_fma_f64 v[24:25], v[30:31], v[48:49], v[32:33]
	v_fma_f64 v[6:7], v[6:7], v[34:35], -v[74:75]
	v_fma_f64 v[26:27], v[34:35], v[52:53], v[36:37]
	v_fma_f64 v[28:29], v[38:39], v[46:47], v[76:77]
	v_fma_f64 v[12:13], v[12:13], v[38:39], -v[40:41]
	v_add_co_u32 v31, vcc_lo, s10, v64
	v_add_co_ci_u32_e32 v32, vcc_lo, s11, v65, vcc_lo
	v_lshrrev_b32_e32 v30, 8, v60
	v_add_co_u32 v46, vcc_lo, v31, v78
	v_add_co_ci_u32_e32 v47, vcc_lo, v32, v79, vcc_lo
	v_add_f64 v[32:33], v[18:19], v[20:21]
	v_add_f64 v[34:35], v[10:11], v[16:17]
	v_mad_u32_u24 v60, 0x264, v30, v80
	v_add_co_u32 v36, vcc_lo, v46, v54
	v_add_co_ci_u32_e32 v37, vcc_lo, v47, v55, vcc_lo
	v_add_f64 v[40:41], v[8:9], v[14:15]
	v_add_f64 v[38:39], v[22:23], v[24:25]
	v_lshlrev_b64 v[30:31], 4, v[60:61]
	v_add_f64 v[48:49], v[18:19], v[50:51]
	v_add_f64 v[42:43], v[26:27], v[28:29]
	;; [unrolled: 1-line block ×3, first 2 shown]
	v_add_f64 v[52:53], v[18:19], -v[20:21]
	v_add_f64 v[54:55], v[8:9], -v[14:15]
	v_add_co_u32 v46, vcc_lo, v46, v30
	s_waitcnt lgkmcnt(0)
	v_add_f64 v[18:19], v[22:23], v[58:59]
	v_add_f64 v[8:9], v[2:3], v[8:9]
	v_add_co_ci_u32_e32 v47, vcc_lo, v47, v31, vcc_lo
	v_add_f64 v[30:31], v[10:11], -v[16:17]
	v_add_f64 v[10:11], v[4:5], v[10:11]
	v_add_f64 v[60:61], v[22:23], -v[24:25]
	v_add_f64 v[22:23], v[26:27], v[56:57]
	v_add_f64 v[62:63], v[0:1], v[6:7]
	v_add_f64 v[64:65], v[26:27], -v[28:29]
	v_fma_f64 v[32:33], v[32:33], -0.5, v[50:51]
	v_add_f64 v[50:51], v[6:7], -v[12:13]
	v_fma_f64 v[34:35], v[34:35], -0.5, v[4:5]
	v_fma_f64 v[26:27], v[38:39], -0.5, v[58:59]
	;; [unrolled: 1-line block ×3, first 2 shown]
	v_add_f64 v[2:3], v[20:21], v[48:49]
	v_fma_f64 v[40:41], v[42:43], -0.5, v[56:57]
	v_fma_f64 v[42:43], v[44:45], -0.5, v[0:1]
	v_add_co_u32 v44, vcc_lo, 0x1000, v36
	v_add_co_ci_u32_e32 v45, vcc_lo, 0, v37, vcc_lo
	v_add_f64 v[6:7], v[24:25], v[18:19]
	v_add_f64 v[4:5], v[8:9], v[14:15]
	v_add_co_u32 v56, vcc_lo, 0x2000, v36
	v_add_co_ci_u32_e32 v57, vcc_lo, 0, v37, vcc_lo
	v_add_f64 v[0:1], v[10:11], v[16:17]
	v_add_f64 v[10:11], v[22:23], v[28:29]
	;; [unrolled: 1-line block ×3, first 2 shown]
	v_fma_f64 v[14:15], v[30:31], s[0:1], v[32:33]
	v_fma_f64 v[18:19], v[30:31], s[2:3], v[32:33]
	;; [unrolled: 1-line block ×12, first 2 shown]
	v_add_co_u32 v38, vcc_lo, 0x1800, v36
	v_add_co_ci_u32_e32 v39, vcc_lo, 0, v37, vcc_lo
	v_add_co_u32 v40, vcc_lo, 0x2800, v36
	v_add_co_ci_u32_e32 v41, vcc_lo, 0, v37, vcc_lo
	;; [unrolled: 2-line block ×4, first 2 shown]
	global_store_dwordx4 v[36:37], v[4:7], off offset:1632
	global_store_dwordx4 v[36:37], v[8:11], off
	global_store_dwordx4 v[38:39], v[24:27], off offset:384
	global_store_dwordx4 v[40:41], v[20:23], off offset:1184
	;; [unrolled: 1-line block ×4, first 2 shown]
	global_store_dwordx4 v[46:47], v[0:3], off
	global_store_dwordx4 v[42:43], v[16:19], off offset:800
	global_store_dwordx4 v[48:49], v[12:15], off offset:1600
.LBB0_25:
	s_endpgm
	.section	.rodata,"a",@progbits
	.p2align	6, 0x0
	.amdhsa_kernel fft_rtc_fwd_len918_factors_17_9_2_3_wgs_102_tpt_102_halfLds_dp_op_CI_CI_unitstride_sbrr_dirReg
		.amdhsa_group_segment_fixed_size 0
		.amdhsa_private_segment_fixed_size 0
		.amdhsa_kernarg_size 104
		.amdhsa_user_sgpr_count 6
		.amdhsa_user_sgpr_private_segment_buffer 1
		.amdhsa_user_sgpr_dispatch_ptr 0
		.amdhsa_user_sgpr_queue_ptr 0
		.amdhsa_user_sgpr_kernarg_segment_ptr 1
		.amdhsa_user_sgpr_dispatch_id 0
		.amdhsa_user_sgpr_flat_scratch_init 0
		.amdhsa_user_sgpr_private_segment_size 0
		.amdhsa_wavefront_size32 1
		.amdhsa_uses_dynamic_stack 0
		.amdhsa_system_sgpr_private_segment_wavefront_offset 0
		.amdhsa_system_sgpr_workgroup_id_x 1
		.amdhsa_system_sgpr_workgroup_id_y 0
		.amdhsa_system_sgpr_workgroup_id_z 0
		.amdhsa_system_sgpr_workgroup_info 0
		.amdhsa_system_vgpr_workitem_id 0
		.amdhsa_next_free_vgpr 247
		.amdhsa_next_free_sgpr 60
		.amdhsa_reserve_vcc 1
		.amdhsa_reserve_flat_scratch 0
		.amdhsa_float_round_mode_32 0
		.amdhsa_float_round_mode_16_64 0
		.amdhsa_float_denorm_mode_32 3
		.amdhsa_float_denorm_mode_16_64 3
		.amdhsa_dx10_clamp 1
		.amdhsa_ieee_mode 1
		.amdhsa_fp16_overflow 0
		.amdhsa_workgroup_processor_mode 1
		.amdhsa_memory_ordered 1
		.amdhsa_forward_progress 0
		.amdhsa_shared_vgpr_count 0
		.amdhsa_exception_fp_ieee_invalid_op 0
		.amdhsa_exception_fp_denorm_src 0
		.amdhsa_exception_fp_ieee_div_zero 0
		.amdhsa_exception_fp_ieee_overflow 0
		.amdhsa_exception_fp_ieee_underflow 0
		.amdhsa_exception_fp_ieee_inexact 0
		.amdhsa_exception_int_div_zero 0
	.end_amdhsa_kernel
	.text
.Lfunc_end0:
	.size	fft_rtc_fwd_len918_factors_17_9_2_3_wgs_102_tpt_102_halfLds_dp_op_CI_CI_unitstride_sbrr_dirReg, .Lfunc_end0-fft_rtc_fwd_len918_factors_17_9_2_3_wgs_102_tpt_102_halfLds_dp_op_CI_CI_unitstride_sbrr_dirReg
                                        ; -- End function
	.section	.AMDGPU.csdata,"",@progbits
; Kernel info:
; codeLenInByte = 12228
; NumSgprs: 62
; NumVgprs: 247
; ScratchSize: 0
; MemoryBound: 1
; FloatMode: 240
; IeeeMode: 1
; LDSByteSize: 0 bytes/workgroup (compile time only)
; SGPRBlocks: 7
; VGPRBlocks: 30
; NumSGPRsForWavesPerEU: 62
; NumVGPRsForWavesPerEU: 247
; Occupancy: 4
; WaveLimiterHint : 1
; COMPUTE_PGM_RSRC2:SCRATCH_EN: 0
; COMPUTE_PGM_RSRC2:USER_SGPR: 6
; COMPUTE_PGM_RSRC2:TRAP_HANDLER: 0
; COMPUTE_PGM_RSRC2:TGID_X_EN: 1
; COMPUTE_PGM_RSRC2:TGID_Y_EN: 0
; COMPUTE_PGM_RSRC2:TGID_Z_EN: 0
; COMPUTE_PGM_RSRC2:TIDIG_COMP_CNT: 0
	.text
	.p2alignl 6, 3214868480
	.fill 48, 4, 3214868480
	.type	__hip_cuid_f257624f97aaaf53,@object ; @__hip_cuid_f257624f97aaaf53
	.section	.bss,"aw",@nobits
	.globl	__hip_cuid_f257624f97aaaf53
__hip_cuid_f257624f97aaaf53:
	.byte	0                               ; 0x0
	.size	__hip_cuid_f257624f97aaaf53, 1

	.ident	"AMD clang version 19.0.0git (https://github.com/RadeonOpenCompute/llvm-project roc-6.4.0 25133 c7fe45cf4b819c5991fe208aaa96edf142730f1d)"
	.section	".note.GNU-stack","",@progbits
	.addrsig
	.addrsig_sym __hip_cuid_f257624f97aaaf53
	.amdgpu_metadata
---
amdhsa.kernels:
  - .args:
      - .actual_access:  read_only
        .address_space:  global
        .offset:         0
        .size:           8
        .value_kind:     global_buffer
      - .offset:         8
        .size:           8
        .value_kind:     by_value
      - .actual_access:  read_only
        .address_space:  global
        .offset:         16
        .size:           8
        .value_kind:     global_buffer
      - .actual_access:  read_only
        .address_space:  global
        .offset:         24
        .size:           8
        .value_kind:     global_buffer
      - .actual_access:  read_only
        .address_space:  global
        .offset:         32
        .size:           8
        .value_kind:     global_buffer
      - .offset:         40
        .size:           8
        .value_kind:     by_value
      - .actual_access:  read_only
        .address_space:  global
        .offset:         48
        .size:           8
        .value_kind:     global_buffer
      - .actual_access:  read_only
        .address_space:  global
        .offset:         56
        .size:           8
        .value_kind:     global_buffer
      - .offset:         64
        .size:           4
        .value_kind:     by_value
      - .actual_access:  read_only
        .address_space:  global
        .offset:         72
        .size:           8
        .value_kind:     global_buffer
      - .actual_access:  read_only
        .address_space:  global
        .offset:         80
        .size:           8
        .value_kind:     global_buffer
      - .actual_access:  read_only
        .address_space:  global
        .offset:         88
        .size:           8
        .value_kind:     global_buffer
      - .actual_access:  write_only
        .address_space:  global
        .offset:         96
        .size:           8
        .value_kind:     global_buffer
    .group_segment_fixed_size: 0
    .kernarg_segment_align: 8
    .kernarg_segment_size: 104
    .language:       OpenCL C
    .language_version:
      - 2
      - 0
    .max_flat_workgroup_size: 102
    .name:           fft_rtc_fwd_len918_factors_17_9_2_3_wgs_102_tpt_102_halfLds_dp_op_CI_CI_unitstride_sbrr_dirReg
    .private_segment_fixed_size: 0
    .sgpr_count:     62
    .sgpr_spill_count: 0
    .symbol:         fft_rtc_fwd_len918_factors_17_9_2_3_wgs_102_tpt_102_halfLds_dp_op_CI_CI_unitstride_sbrr_dirReg.kd
    .uniform_work_group_size: 1
    .uses_dynamic_stack: false
    .vgpr_count:     247
    .vgpr_spill_count: 0
    .wavefront_size: 32
    .workgroup_processor_mode: 1
amdhsa.target:   amdgcn-amd-amdhsa--gfx1030
amdhsa.version:
  - 1
  - 2
...

	.end_amdgpu_metadata
